;; amdgpu-corpus repo=ROCm/aiter kind=harvested arch=n/a opt=n/a

/root/src/amdgpu-assembly/repos/ROCm__aiter/hsa/gfx942/pa/pa_bf16_perblockFp8_blk256_1tg_4w_qlen16_msk1_ps.co:	file format elf64-amdgpu

Disassembly of section .text:

0000000000002600 <_ZN5aiter44PA_A16W8_BLK256_1TG_4W_16mx1_64nx4_MTP_PS_PBE>:
	s_and_b32 s1, s1, 0xffff                                   // 000000002600: 8601FF01 0000FFFF
	s_load_dwordx2 s[4:5], s[0:1], 0x0                         // 000000002608: C0060100 00000000
	s_load_dwordx2 s[8:9], s[0:1], 0x10                        // 000000002610: C0060200 00000010
	s_load_dwordx2 s[12:13], s[0:1], 0x20                      // 000000002618: C0060300 00000020
	s_load_dwordx2 s[16:17], s[0:1], 0x30                      // 000000002620: C0060400 00000030
	s_load_dwordx2 s[42:43], s[0:1], 0x40                      // 000000002628: C0060A80 00000040
	s_load_dwordx2 s[40:41], s[0:1], 0x50                      // 000000002630: C0060A00 00000050
	s_load_dwordx2 s[20:21], s[0:1], 0x60                      // 000000002638: C0060500 00000060
	s_load_dwordx2 s[24:25], s[0:1], 0x70                      // 000000002640: C0060600 00000070
	s_load_dword s46, s[0:1], 0x80                             // 000000002648: C0020B80 00000080
	s_load_dword s48, s[0:1], 0x90                             // 000000002650: C0020C00 00000090
	s_load_dword s49, s[0:1], 0xa0                             // 000000002658: C0020C40 000000A0
	s_load_dword s50, s[0:1], 0xb0                             // 000000002660: C0020C80 000000B0
	s_load_dword s51, s[0:1], 0xc0                             // 000000002668: C0020CC0 000000C0
	s_load_dword s52, s[0:1], 0xd0                             // 000000002670: C0020D00 000000D0
	s_load_dword s53, s[0:1], 0xe0                             // 000000002678: C0020D40 000000E0
	s_load_dwordx2 s[44:45], s[0:1], 0x100                     // 000000002680: C0060B00 00000100
	s_load_dwordx2 s[36:37], s[0:1], 0x110                     // 000000002688: C0060900 00000110
	s_load_dwordx2 s[38:39], s[0:1], 0x120                     // 000000002690: C0060980 00000120
	s_load_dwordx2 s[28:29], s[0:1], 0x130                     // 000000002698: C0060700 00000130
	s_load_dwordx2 s[32:33], s[0:1], 0x140                     // 0000000026A0: C0060800 00000140
	v_lshrrev_b32_e32 v1, 10, v0                               // 0000000026A8: 2002008A
	v_lshrrev_b32_e32 v2, 10, v1                               // 0000000026AC: 2004028A
	v_and_b32_e32 v2, 0x3ff, v2                                // 0000000026B0: 260404FF 000003FF
	v_and_b32_e32 v1, 0x3ff, v1                                // 0000000026B8: 260202FF 000003FF
	v_and_b32_e32 v0, 0x3ff, v0                                // 0000000026C0: 260000FF 000003FF
	v_lshrrev_b32_e32 v3, 6, v0                                // 0000000026C8: 20060086
	v_and_b32_e32 v0, 63, v0                                   // 0000000026CC: 260000BF
	s_mov_b32 s58, s2                                          // 0000000026D0: BEBA0002
	v_readfirstlane_b32 s57, v3                                // 0000000026D4: 7E720503
	s_mov_b32 s56, 0x7060302                                   // 0000000026D8: BEB800FF 07060302
	v_mov_b32_e32 v102, 0xffff0000                             // 0000000026E0: 7ECC02FF FFFF0000
	v_mov_b32_e32 v103, 0x7fff0000                             // 0000000026E8: 7ECE02FF 7FFF0000
	v_mov_b32_e32 v104, 0x7fff                                 // 0000000026F0: 7ED002FF 00007FFF
	v_mov_b32_e32 v107, 0xff800000                             // 0000000026F8: 7ED602FF FF800000
	s_waitcnt lgkmcnt(0)                                       // 000000002700: BF8CC07F
	s_lshl_b32 s54, s58, 2                                     // 000000002704: 8E36823A
	s_and_b32 s37, s37, 0xffff                                 // 000000002708: 8625FF25 0000FFFF
	s_load_dwordx2 s[80:81], s[36:37], s54                     // 000000002710: C0041412 00000036
	s_mul_i32 s54, s53, 0x100                                  // 000000002718: 9236FF35 00000100
	s_mul_i32 s67, s48, s54                                    // 000000002720: 92433630
	s_mul_i32 s66, s48, 4                                      // 000000002724: 92428430
	s_mov_b32 s47, s46                                         // 000000002728: BEAF002E
	s_mov_b32 s10, 0x80000000                                  // 00000000272C: BE8A00FF 80000000
	s_mov_b32 s11, 0x20000                                     // 000000002734: BE8B00FF 00020000
	s_and_b32 s9, s9, 0xffff                                   // 00000000273C: 8609FF09 0000FFFF
	s_or_b32 s9, s9, 0                                         // 000000002744: 87098009
	s_mov_b32 s84, s8                                          // 000000002748: BED40008
	s_mov_b32 s85, s9                                          // 00000000274C: BED50009
	s_mov_b32 s6, 0x80000000                                   // 000000002750: BE8600FF 80000000
	s_mov_b32 s7, 0x20000                                      // 000000002758: BE8700FF 00020000
	s_and_b32 s5, s5, 0xffff                                   // 000000002760: 8605FF05 0000FFFF
	s_or_b32 s5, s5, 0                                         // 000000002768: 87058005
	s_mov_b32 s82, s4                                          // 00000000276C: BED20004
	s_mov_b32 s83, s5                                          // 000000002770: BED30005
	s_mov_b32 s30, 0x80000000                                  // 000000002774: BE9E00FF 80000000
	s_mov_b32 s31, 0x20000                                     // 00000000277C: BE9F00FF 00020000
	s_and_b32 s29, s29, 0xffff                                 // 000000002784: 861DFF1D 0000FFFF
	s_or_b32 s29, s29, 0                                       // 00000000278C: 871D801D
	s_mov_b32 s94, s28                                         // 000000002790: BEDE001C
	s_mov_b32 s95, s29                                         // 000000002794: BEDF001D
	s_mov_b32 s34, 0x80000000                                  // 000000002798: BEA200FF 80000000
	s_mov_b32 s35, 0x20000                                     // 0000000027A0: BEA300FF 00020000
	s_and_b32 s33, s33, 0xffff                                 // 0000000027A8: 8621FF21 0000FFFF
	s_or_b32 s33, s33, 0                                       // 0000000027B0: 87218021
	s_mov_b32 s96, s32                                         // 0000000027B4: BEE00020
	s_mov_b32 s97, s33                                         // 0000000027B8: BEE10021
	s_mov_b32 s14, 0x80000000                                  // 0000000027BC: BE8E00FF 80000000
	s_mov_b32 s15, 0x20000                                     // 0000000027C4: BE8F00FF 00020000
	s_and_b32 s13, s13, 0xffff                                 // 0000000027CC: 860DFF0D 0000FFFF
	s_or_b32 s13, s13, 0                                       // 0000000027D4: 870D800D
	s_mul_i32 s55, s57, 0x100                                  // 0000000027D8: 9237FF39 00000100
	s_add_u32 s86, s12, s55                                    // 0000000027E0: 8056370C
	s_addc_u32 s87, s13, 0                                     // 0000000027E4: 8257800D
	s_mov_b32 s18, 0x80000000                                  // 0000000027E8: BE9200FF 80000000
	s_mov_b32 s19, 0x20000                                     // 0000000027F0: BE9300FF 00020000
	s_and_b32 s17, s17, 0xffff                                 // 0000000027F8: 8611FF11 0000FFFF
	s_or_b32 s17, s17, 0                                       // 000000002800: 87118011
	s_add_u32 s88, s16, s55                                    // 000000002804: 80583710
	s_addc_u32 s89, s17, 0                                     // 000000002808: 82598011
	s_mov_b32 s22, 0x80000000                                  // 00000000280C: BE9600FF 80000000
	s_mov_b32 s23, 0x20000                                     // 000000002814: BE9700FF 00020000
	s_and_b32 s21, s21, 0xffff                                 // 00000000281C: 8615FF15 0000FFFF
	s_or_b32 s21, s21, 0                                       // 000000002824: 87158015
	s_add_u32 s90, s20, 0                                      // 000000002828: 805A8014
	s_addc_u32 s91, s21, 0                                     // 00000000282C: 825B8015
	s_mov_b32 s26, 0x80000000                                  // 000000002830: BE9A00FF 80000000
	s_mov_b32 s27, 0x20000                                     // 000000002838: BE9B00FF 00020000
	s_and_b32 s25, s25, 0xffff                                 // 000000002840: 8619FF19 0000FFFF
	s_or_b32 s25, s25, 0                                       // 000000002848: 87198019
	s_add_u32 s92, s24, 0                                      // 00000000284C: 805C8018
	s_addc_u32 s93, s25, 0                                     // 000000002850: 825D8019
	s_and_b32 s39, s39, 0xffff                                 // 000000002854: 8627FF27 0000FFFF
	s_and_b32 s41, s41, 0xffff                                 // 00000000285C: 8629FF29 0000FFFF
	s_and_b32 s43, s43, 0xffff                                 // 000000002864: 862BFF2B 0000FFFF
	s_and_b32 s45, s45, 0xffff                                 // 00000000286C: 862DFF2D 0000FFFF
	v_and_b32_e32 v84, 15, v0                                  // 000000002874: 26A8008F
	v_lshlrev_b32_e32 v84, 4, v84                              // 000000002878: 24A8A884
	s_lshl_b32 s54, s57, 2                                     // 00000000287C: 8E368239
	v_lshrrev_b32_e32 v76, 4, v0                               // 000000002880: 20980084
	v_add_u32_e32 v76, s54, v76                                // 000000002884: 68989836
	v_cvt_f32_u32_e32 v72, s53                                 // 000000002888: 7E900C35
	v_sub_i32 v80, 0, s53                                      // 00000000288C: D29D0050 00006A80
	v_rcp_iflag_f32_e32 v72, v72                               // 000000002894: 7E904748
	s_nop 0                                                    // 000000002898: BF800000
	v_mul_f32_e32 v72, 0x4f7ffffe, v72                         // 00000000289C: 0A9090FF 4F7FFFFE
	v_cvt_u32_f32_e32 v72, v72                                 // 0000000028A4: 7E900F48
	v_mul_lo_u32 v73, v80, v72                                 // 0000000028A8: D2850049 00029150
	v_mul_hi_u32 v73, v72, v73                                 // 0000000028B0: D2860049 00029348
	v_add_u32_e32 v72, v72, v73                                // 0000000028B8: 68909348
	v_mul_hi_u32 v72, v76, v72                                 // 0000000028BC: D2860048 0002914C
	v_mul_lo_u32 v73, v72, s53                                 // 0000000028C4: D2850049 00006B48
	v_sub_u32_e32 v75, v76, v73                                // 0000000028CC: 6A96934C
	v_add_u32_e32 v74, 1, v72                                  // 0000000028D0: 68949081
	v_cmp_le_u32_e32 vcc, s53, v75                             // 0000000028D4: 7D969635
	v_subrev_u32_e32 v73, s53, v75                             // 0000000028D8: 6C929635
	s_nop 0                                                    // 0000000028DC: BF800000
	v_cndmask_b32_e32 v72, v72, v74, vcc                       // 0000000028E0: 00909548
	v_cndmask_b32_e32 v75, v75, v73, vcc                       // 0000000028E4: 0096934B
	v_add_u32_e32 v73, 1, v72                                  // 0000000028E8: 68929081
	v_cmp_le_u32_e32 vcc, s53, v75                             // 0000000028EC: 7D969635
	s_nop 1                                                    // 0000000028F0: BF800001
	v_cndmask_b32_e32 v80, v72, v73, vcc                       // 0000000028F4: 00A09348
	v_mul_i32_i24_e32 v74, s53, v80                            // 0000000028F8: 0C94A035
	v_sub_u32_e32 v74, v76, v74                                // 0000000028FC: 6A94954C
	v_mul_u32_u24_e32 v74, 0x100, v74                          // 000000002900: 109494FF 00000100
	v_mul_u32_u24_e32 v108, s49, v80                           // 000000002908: 10D8A031
	v_add3_u32 v108, v74, v108, v84                            // 00000000290C: D1FF006C 0552D94A
	v_mul_u32_u24_e32 v109, s67, v80                           // 000000002914: 10DAA043
	v_add3_u32 v109, v74, v109, v84                            // 000000002918: D1FF006D 0552DB4A
	s_lshl_b32 s54, s57, 6                                     // 000000002920: 8E368639
	v_lshrrev_b32_e32 v84, 4, v0                               // 000000002924: 20A80084
	v_lshlrev_b32_e32 v84, 4, v84                              // 000000002928: 24A8A884
	v_add_u32_e32 v84, s54, v84                                // 00000000292C: 68A8A836
	v_and_b32_e32 v76, 15, v0                                  // 000000002930: 2698008F
	s_mul_i32 s54, s48, s53                                    // 000000002934: 92363530
	s_lshl_b32 s54, s54, 2                                     // 000000002938: 8E368236
	s_mul_i32 s55, s54, 0x80                                   // 00000000293C: 9237FF36 00000080
	v_cvt_f32_u32_e32 v72, s53                                 // 000000002944: 7E900C35
	v_sub_i32 v80, 0, s53                                      // 000000002948: D29D0050 00006A80
	v_rcp_iflag_f32_e32 v72, v72                               // 000000002950: 7E904748
	s_nop 0                                                    // 000000002954: BF800000
	v_mul_f32_e32 v72, 0x4f7ffffe, v72                         // 000000002958: 0A9090FF 4F7FFFFE
	v_cvt_u32_f32_e32 v72, v72                                 // 000000002960: 7E900F48
	v_mul_lo_u32 v73, v80, v72                                 // 000000002964: D2850049 00029150
	v_mul_hi_u32 v73, v72, v73                                 // 00000000296C: D2860049 00029348
	v_add_u32_e32 v72, v72, v73                                // 000000002974: 68909348
	v_mul_hi_u32 v72, v76, v72                                 // 000000002978: D2860048 0002914C
	v_mul_lo_u32 v73, v72, s53                                 // 000000002980: D2850049 00006B48
	v_sub_u32_e32 v75, v76, v73                                // 000000002988: 6A96934C
	v_add_u32_e32 v74, 1, v72                                  // 00000000298C: 68949081
	v_cmp_le_u32_e32 vcc, s53, v75                             // 000000002990: 7D969635
	v_subrev_u32_e32 v73, s53, v75                             // 000000002994: 6C929635
	s_nop 0                                                    // 000000002998: BF800000
	v_cndmask_b32_e32 v72, v72, v74, vcc                       // 00000000299C: 00909548
	v_cndmask_b32_e32 v75, v75, v73, vcc                       // 0000000029A0: 0096934B
	v_add_u32_e32 v73, 1, v72                                  // 0000000029A4: 68929081
	v_cmp_le_u32_e32 vcc, s53, v75                             // 0000000029A8: 7D969635
	s_nop 1                                                    // 0000000029AC: BF800001
	v_cndmask_b32_e32 v80, v72, v73, vcc                       // 0000000029B0: 00A09348
	v_mul_i32_i24_e32 v74, s53, v80                            // 0000000029B4: 0C94A035
	v_sub_u32_e32 v74, v76, v74                                // 0000000029B8: 6A94954C
	v_lshlrev_b32_e32 v75, 2, v74                              // 0000000029BC: 24969482
	v_mul_u32_u24_e32 v118, s54, v80                           // 0000000029C0: 10ECA036
	v_add_u32_e32 v118, v75, v118                              // 0000000029C4: 68ECED4B
	v_mul_u32_u24_e32 v75, 0x200, v74                          // 0000000029C8: 109694FF 00000200
	v_mul_u32_u24_e32 v120, s55, v80                           // 0000000029D0: 10F0A037
	v_add3_u32 v120, v75, v120, v84                            // 0000000029D4: D1FF0078 0552F14B
	s_lshl_b32 s54, s57, 4                                     // 0000000029DC: 8E368439
	v_and_b32_e32 v72, 15, v0                                  // 0000000029E0: 2690008F
	v_mul_i32_i24_e32 v72, 0x50, v72                           // 0000000029E4: 0C9090FF 00000050
	v_lshrrev_b32_e32 v73, 4, v0                               // 0000000029EC: 20920084
	v_lshlrev_b32_e32 v73, 2, v73                              // 0000000029F0: 24929282
	v_add3_u32 v122, v72, v73, s54                             // 0000000029F4: D1FF007A 00DA9348
	v_and_b32_e32 v123, 15, v0                                 // 0000000029FC: 26F6008F
	v_lshlrev_b32_e32 v123, 2, v123                            // 000000002A00: 24F6F682
	s_mul_i32 s54, s57, 0x240                                  // 000000002A04: 9236FF39 00000240
	v_lshrrev_b32_e32 v72, 4, v0                               // 000000002A0C: 20900084
	v_lshlrev_b32_e32 v72, 7, v72                              // 000000002A10: 24909087
	v_lshrrev_b32_e32 v73, 5, v0                               // 000000002A14: 20920085
	v_lshlrev_b32_e32 v73, 5, v73                              // 000000002A18: 24929285
	v_and_b32_e32 v74, 15, v0                                  // 000000002A1C: 2694008F
	v_lshlrev_b32_e32 v74, 3, v74                              // 000000002A20: 24949483
	v_add3_u32 v72, v72, v73, v74                              // 000000002A24: D1FF0048 052A9348
	v_add_u32_e32 v124, s54, v72                               // 000000002A2C: 68F89036
	v_and_b32_e32 v72, 15, v0                                  // 000000002A30: 2690008F
	v_lshlrev_b32_e32 v73, 7, v72                              // 000000002A34: 24929087
	v_lshrrev_b32_e32 v72, 1, v72                              // 000000002A38: 20909081
	v_lshlrev_b32_e32 v72, 5, v72                              // 000000002A3C: 24909085
	v_lshrrev_b32_e32 v74, 4, v0                               // 000000002A40: 20940084
	v_lshlrev_b32_e32 v74, 4, v74                              // 000000002A44: 24949484
	v_add3_u32 v125, v72, v73, v74                             // 000000002A48: D1FF007D 052A9348
	s_mul_i32 s54, s57, 0x240                                  // 000000002A50: 9236FF39 00000240
	v_lshrrev_b32_e32 v72, 5, v0                               // 000000002A58: 20900085
	v_mul_i32_i24_e32 v72, 0x120, v72                          // 000000002A5C: 0C9090FF 00000120
	v_lshrrev_b32_e32 v73, 4, v0                               // 000000002A64: 20920084
	v_and_b32_e32 v73, 1, v73                                  // 000000002A68: 26929281
	v_lshlrev_b32_e32 v73, 3, v73                              // 000000002A6C: 24929283
	v_and_b32_e32 v74, 15, v0                                  // 000000002A70: 2694008F
	v_lshlrev_b32_e32 v74, 4, v74                              // 000000002A74: 24949484
	v_add3_u32 v126, v72, v73, v74                             // 000000002A78: D1FF007E 052A9348
	v_add_u32_e32 v126, s54, v126                              // 000000002A80: 68FCFC36
	s_lshl_b32 s54, s57, 6                                     // 000000002A84: 8E368639
	v_lshrrev_b32_e32 v72, 4, v0                               // 000000002A88: 20900084
	v_lshlrev_b32_e32 v72, 4, v72                              // 000000002A8C: 24909084
	v_and_b32_e32 v73, 15, v0                                  // 000000002A90: 2692008F
	v_mul_i32_i24_e32 v73, 0x120, v73                          // 000000002A94: 0C9292FF 00000120
	v_add3_u32 v127, v72, v73, s54                             // 000000002A9C: D1FF007F 00DA9348
	v_lshrrev_b32_e32 v72, 4, v0                               // 000000002AA4: 20900084
	v_and_b32_e32 v73, 15, v0                                  // 000000002AA8: 2692008F
	v_lshlrev_b32_e32 v74, 4, v73                              // 000000002AAC: 24949284
	v_mul_i32_i24_e32 v110, 0x1000, v72                        // 000000002AB0: 0CDC90FF 00001000
	v_add_u32_e32 v110, v74, v110                              // 000000002AB8: 68DCDD4A
	v_add_u32_e32 v111, 0x4000, v110                           // 000000002ABC: 68DEDCFF 00004000
	v_mul_i32_i24_e32 v112, 0x800, v72                         // 000000002AC4: 0CE090FF 00000800
	v_add_u32_e32 v112, v74, v112                              // 000000002ACC: 68E0E14A
	v_add_u32_e32 v113, 0x2000, v112                           // 000000002AD0: 68E2E0FF 00002000
	v_add_u32_e32 v114, 0x2000, v113                           // 000000002AD8: 68E4E2FF 00002000
	v_add_u32_e32 v115, 0x2000, v114                           // 000000002AE0: 68E6E4FF 00002000
	v_mov_b32_e32 v116, 0                                      // 000000002AE8: 7EE80280
	v_mov_b32_e32 v117, 0                                      // 000000002AEC: 7EEA0280
	s_lshl_b32 s54, s57, 4                                     // 000000002AF0: 8E368439
	v_lshrrev_b32_e32 v106, 4, v0                              // 000000002AF4: 20D40084
	v_lshlrev_b32_e32 v106, 2, v106                            // 000000002AF8: 24D4D482
	v_add_u32_e32 v106, s54, v106                              // 000000002AFC: 68D4D436
	s_lshl_b32 s54, s57, 6                                     // 000000002B00: 8E368639
	v_add_u32_e32 v128, s54, v0                                // 000000002B04: 69000036
	v_lshlrev_b32_e32 v128, 2, v128                            // 000000002B08: 25010082
	v_and_b32_e32 v129, 15, v0                                 // 000000002B0C: 2702008F
	v_lshlrev_b32_e32 v129, 2, v129                            // 000000002B10: 25030282
	s_lshl_b32 s54, s57, 8                                     // 000000002B14: 8E368839
	v_and_b32_e32 v73, 15, v0                                  // 000000002B18: 2692008F
	v_lshlrev_b32_e32 v73, 4, v73                              // 000000002B1C: 24929284
	v_lshrrev_b32_e32 v74, 4, v0                               // 000000002B20: 20940084
	v_lshlrev_b32_e32 v74, 2, v74                              // 000000002B24: 24949482
	v_add3_u32 v130, v73, v74, s54                             // 000000002B28: D1FF0082 00DA9549
	v_and_b32_e32 v72, 15, v0                                  // 000000002B30: 2690008F
	v_lshlrev_b32_e32 v72, 4, v72                              // 000000002B34: 24909084
	v_lshrrev_b32_e32 v73, 4, v0                               // 000000002B38: 20920084
	v_lshlrev_b32_e32 v73, 8, v73                              // 000000002B3C: 24929288
	v_add_u32_e32 v131, v72, v73                               // 000000002B40: 69069348
	s_waitcnt lgkmcnt(0)                                       // 000000002B44: BF8CC07F

0000000000002b48 <label_0152>:
	s_cmp_lt_i32 s80, s81                                      // 000000002B48: BF045150
	s_cbranch_scc0 label_11AD                                  // 000000002B4C: BF841059
	s_lshl_b32 s54, s80, 5                                     // 000000002B50: 8E368550
	s_load_dwordx8 s[72:79], s[38:39], s54                     // 000000002B54: C00C1213 00000036
	v_mov_b32_e32 v96, 0xff7fffff                              // 000000002B5C: 7EC002FF FF7FFFFF
	v_mov_b64_e32 v[94:95], 0                                  // 000000002B64: 7EBC7080
	v_mov_b64_e32 v[98:99], 0                                  // 000000002B68: 7EC47080
	v_mov_b64_e32 v[70:71], 0                                  // 000000002B6C: 7E8C7080
	v_mov_b32_e32 v56, 0                                       // 000000002B70: 7E700280
	v_mov_b32_e32 v48, 0                                       // 000000002B74: 7E600280
	v_mov_b32_e32 v57, 0                                       // 000000002B78: 7E720280
	v_mov_b32_e32 v49, 0                                       // 000000002B7C: 7E620280
	v_mov_b32_e32 v58, 0                                       // 000000002B80: 7E740280
	v_mov_b32_e32 v50, 0                                       // 000000002B84: 7E640280
	v_mov_b32_e32 v59, 0                                       // 000000002B88: 7E760280
	v_mov_b32_e32 v51, 0                                       // 000000002B8C: 7E660280
	v_mov_b32_e32 v60, 0                                       // 000000002B90: 7E780280
	v_mov_b32_e32 v52, 0                                       // 000000002B94: 7E680280
	v_mov_b32_e32 v61, 0                                       // 000000002B98: 7E7A0280
	v_mov_b32_e32 v53, 0                                       // 000000002B9C: 7E6A0280
	v_mov_b32_e32 v62, 0                                       // 000000002BA0: 7E7C0280
	v_mov_b32_e32 v54, 0                                       // 000000002BA4: 7E6C0280
	v_mov_b32_e32 v63, 0                                       // 000000002BA8: 7E7E0280
	v_mov_b32_e32 v55, 0                                       // 000000002BAC: 7E6E0280
	s_waitcnt lgkmcnt(0)                                       // 000000002BB0: BF8CC07F
	s_mul_i32 s64, s76, 0x100                                  // 000000002BB4: 9240FF4C 00000100
	s_lshl_b32 s54, s72, 2                                     // 000000002BBC: 8E368248
	s_load_dword s60, s[44:45], s54                            // 000000002BC0: C0000F16 00000036
	s_load_dword s61, s[40:41], s54                            // 000000002BC8: C0000F54 00000036
	s_lshl_b32 s68, s76, 2                                     // 000000002BD0: 8E44824C
	s_cmp_lt_u32 s76, s77                                      // 000000002BD4: BF0A4D4C
	s_cselect_b32 s68, s68, 0                                  // 000000002BD8: 85448044
	s_addk_i32 s76, 0x1                                        // 000000002BDC: B74C0001
	s_load_dword s59, s[42:43], s68                            // 000000002BE0: C0000ED5 00000044
	s_and_b32 s79, s79, 0xffff                                 // 000000002BE8: 864FFF4F 0000FFFF
	v_cvt_f32_u32_e32 v72, s53                                 // 000000002BF0: 7E900C35
	s_sub_i32 s78, 0, s53                                      // 000000002BF4: 81CE3580
	v_rcp_iflag_f32_e32 v72, v72                               // 000000002BF8: 7E904748
	s_nop 0                                                    // 000000002BFC: BF800000
	v_mul_f32_e32 v72, 0x4f7ffffe, v72                         // 000000002C00: 0A9090FF 4F7FFFFE
	v_cvt_u32_f32_e32 v72, v72                                 // 000000002C08: 7E900F48
	v_mul_lo_u32 v73, s78, v72                                 // 000000002C0C: D2850049 0002904E
	v_mul_hi_u32 v73, v72, v73                                 // 000000002C14: D2860049 00029348
	v_add_u32_e32 v72, v72, v73                                // 000000002C1C: 68909348
	v_mul_hi_u32 v72, s79, v72                                 // 000000002C20: D2860048 0002904F
	v_mul_lo_u32 v73, v72, s53                                 // 000000002C28: D2850049 00006B48
	v_sub_u32_e32 v75, s79, v73                                // 000000002C30: 6A96924F
	v_add_u32_e32 v74, 1, v72                                  // 000000002C34: 68949081
	v_cmp_le_u32_e32 vcc, s53, v75                             // 000000002C38: 7D969635
	v_subrev_u32_e32 v73, s53, v75                             // 000000002C3C: 6C929635
	s_nop 0                                                    // 000000002C40: BF800000
	v_cndmask_b32_e32 v72, v72, v74, vcc                       // 000000002C44: 00909548
	v_cndmask_b32_e32 v75, v75, v73, vcc                       // 000000002C48: 0096934B
	v_add_u32_e32 v73, 1, v72                                  // 000000002C4C: 68929081
	v_cmp_le_u32_e32 vcc, s53, v75                             // 000000002C50: 7D969635
	s_nop 1                                                    // 000000002C54: BF800001
	v_cndmask_b32_e32 v75, v72, v73, vcc                       // 000000002C58: 00969348
	s_nop 3                                                    // 000000002C5C: BF800003
	v_readfirstlane_b32 s78, v75                               // 000000002C60: 7E9C054B
	s_nop 3                                                    // 000000002C64: BF800003
	s_mul_i32 s65, s53, 0x100                                  // 000000002C68: 9241FF35 00000100
	s_add_u32 s54, s52, 1                                      // 000000002C70: 80368134
	s_mul_i32 s54, s49, s54                                    // 000000002C74: 92363631
	s_mul_i32 s54, s72, s54                                    // 000000002C78: 92363648
	s_mul_i32 s55, s78, s65                                    // 000000002C7C: 9237414E
	s_add_u32 s54, s54, s55                                    // 000000002C80: 80363736
	s_add_u32 s8, s84, s54                                     // 000000002C84: 80083654
	s_addc_u32 s9, s85, 0                                      // 000000002C88: 82098055
	s_mul_i32 s54, s52, s49                                    // 000000002C8C: 92363134
	s_add_u32 s10, s54, s65                                    // 000000002C90: 800A4136
	s_add_u32 s54, s52, 1                                      // 000000002C94: 80368134
	s_mul_i32 s54, s54, s67                                    // 000000002C98: 92364336
	s_mul_i32 s54, s54, s72                                    // 000000002C9C: 92364836
	s_mul_i32 s55, s78, s65                                    // 000000002CA0: 9237414E
	s_add_u32 s54, s54, s55                                    // 000000002CA4: 80363736
	s_add_u32 s4, s82, s54                                     // 000000002CA8: 80043652
	s_addc_u32 s5, s83, 0                                      // 000000002CAC: 82058053
	s_mul_i32 s54, s52, s67                                    // 000000002CB0: 92364334
	s_add_u32 s6, s54, s65                                     // 000000002CB4: 80064136
	s_mul_i32 s55, s53, 0x200                                  // 000000002CB8: 9237FF35 00000200
	s_mul_i32 s54, s73, s48                                    // 000000002CC0: 92363049
	s_add_u32 s54, s54, s78                                    // 000000002CC4: 80364E36
	s_mul_i32 s54, s54, s55                                    // 000000002CC8: 92363736
	s_add_u32 s28, s94, s54                                    // 000000002CCC: 801C365E
	s_addc_u32 s29, s95, 0                                     // 000000002CD0: 821D805F
	s_add_u32 s54, s52, 1                                      // 000000002CD4: 80368134
	s_mul_i32 s54, s54, s48                                    // 000000002CD8: 92363036
	s_mul_i32 s30, s54, s55                                    // 000000002CDC: 921E3736
	s_mul_i32 s55, s53, 4                                      // 000000002CE0: 92378435
	s_mul_i32 s54, s73, s48                                    // 000000002CE4: 92363049
	s_add_u32 s54, s54, s78                                    // 000000002CE8: 80364E36
	s_mul_i32 s54, s54, s55                                    // 000000002CEC: 92363736
	s_add_u32 s32, s96, s54                                    // 000000002CF0: 80203660
	s_addc_u32 s33, s97, 0                                     // 000000002CF4: 82218061
	s_add_u32 s54, s52, 1                                      // 000000002CF8: 80368134
	s_mul_i32 s54, s54, s48                                    // 000000002CFC: 92363036
	s_mul_i32 s34, s54, s55                                    // 000000002D00: 92223736
	buffer_load_dwordx4 v[4:7], v108, s[8:11], 0 offen         // 000000002D04: E05C1000 8002046C
	s_waitcnt lgkmcnt(0)                                       // 000000002D0C: BF8CC07F
	s_mul_i32 s54, s60, 0x100                                  // 000000002D10: 9236FF3C 00000100
	s_sub_i32 s64, s64, s54                                    // 000000002D18: 81C03640
	s_mul_i32 s69, s59, s50                                    // 000000002D1C: 9245323B
	s_mul_i32 s71, s59, s66                                    // 000000002D20: 9247423B
	s_mul_i32 s54, s78, s51                                    // 000000002D24: 9236334E
	s_add_u32 s69, s69, s54                                    // 000000002D28: 80453645
	s_mov_b32 s70, s69                                         // 000000002D2C: BEC60045
	s_mul_i32 s54, s78, 4                                      // 000000002D30: 9236844E
	s_add_u32 s71, s71, s54                                    // 000000002D34: 80473647
	s_add_u32 s12, s86, s69                                    // 000000002D38: 800C4556
	s_addc_u32 s13, s87, 0                                     // 000000002D3C: 820D8057
	s_add_u32 s16, s88, s70                                    // 000000002D40: 80104658
	s_addc_u32 s17, s89, 0                                     // 000000002D44: 82118059
	s_add_u32 s20, s90, s71                                    // 000000002D48: 8014475A
	s_addc_u32 s21, s91, 0                                     // 000000002D4C: 8215805B
	s_add_u32 s24, s92, s71                                    // 000000002D50: 8018475C
	s_addc_u32 s25, s93, 0                                     // 000000002D54: 8219805D
	buffer_load_dwordx4 a[0:3], v110, s[12:15], 0 offen        // 000000002D58: E05C1000 8083006E
	buffer_load_dwordx4 a[4:7], v111, s[12:15], 0 offen        // 000000002D60: E05C1000 8083046F
	buffer_load_dwordx4 a[8:11], v110, s[12:15], 0 offen offset:1024// 000000002D68: E05C1400 8083086E
	buffer_load_dwordx4 a[12:15], v111, s[12:15], 0 offen offset:1024// 000000002D70: E05C1400 80830C6F
	buffer_load_dwordx4 a[16:19], v110, s[12:15], 0 offen offset:2048// 000000002D78: E05C1800 8083106E
	buffer_load_dwordx4 a[20:23], v111, s[12:15], 0 offen offset:2048// 000000002D80: E05C1800 8083146F
	buffer_load_dwordx4 a[24:27], v110, s[12:15], 0 offen offset:3072// 000000002D88: E05C1C00 8083186E
	buffer_load_dwordx4 a[28:31], v111, s[12:15], 0 offen offset:3072// 000000002D90: E05C1C00 80831C6F
	buffer_load_dword v66, v116, s[20:23], 0 offen             // 000000002D98: E0501000 80054274
	buffer_load_dword v68, v117, s[24:27], 0 offen             // 000000002DA0: E0501000 80064475
	buffer_load_dwordx4 a[64:67], v112, s[16:19], 0 offen      // 000000002DA8: E05C1000 80844070
	buffer_load_dwordx4 a[68:71], v113, s[16:19], 0 offen      // 000000002DB0: E05C1000 80844471
	buffer_load_dwordx4 a[72:75], v114, s[16:19], 0 offen      // 000000002DB8: E05C1000 80844872
	buffer_load_dwordx4 a[76:79], v115, s[16:19], 0 offen      // 000000002DC0: E05C1000 80844C73
	buffer_load_dwordx4 a[80:83], v112, s[16:19], 0 offen offset:1024// 000000002DC8: E05C1400 80845070
	buffer_load_dwordx4 a[84:87], v113, s[16:19], 0 offen offset:1024// 000000002DD0: E05C1400 80845471
	buffer_load_dwordx4 a[88:91], v114, s[16:19], 0 offen offset:1024// 000000002DD8: E05C1400 80845872
	buffer_load_dwordx4 a[92:95], v115, s[16:19], 0 offen offset:1024// 000000002DE0: E05C1400 80845C73
	s_sub_i32 s54, s77, s60                                    // 000000002DE8: 81B63C4D
	s_mul_i32 s62, s54, 0x100                                  // 000000002DEC: 923EFF36 00000100
	s_cmp_lt_i32 s62, s61                                      // 000000002DF4: BF043D3E
	s_cselect_b32 s62, s62, s61                                // 000000002DF8: 853E3D3E
	s_sub_i32 s54, s61, s52                                    // 000000002DFC: 81B6343D
	v_and_b32_e32 v76, 15, v0                                  // 000000002E00: 2698008F
	s_cmp_lt_i32 s62, s54                                      // 000000002E04: BF04363E
	s_cselect_b32 s63, s62, s54                                // 000000002E08: 853F363E
	s_and_b32 s63, s63, 0xffffff00                             // 000000002E0C: 863FFF3F FFFFFF00
	v_cvt_f32_u32_e32 v72, s53                                 // 000000002E14: 7E900C35
	v_sub_i32 v78, 0, s53                                      // 000000002E18: D29D004E 00006A80
	v_rcp_iflag_f32_e32 v72, v72                               // 000000002E20: 7E904748
	s_nop 0                                                    // 000000002E24: BF800000
	v_mul_f32_e32 v72, 0x4f7ffffe, v72                         // 000000002E28: 0A9090FF 4F7FFFFE
	v_cvt_u32_f32_e32 v72, v72                                 // 000000002E30: 7E900F48
	v_mul_lo_u32 v73, v78, v72                                 // 000000002E34: D2850049 0002914E
	v_mul_hi_u32 v73, v72, v73                                 // 000000002E3C: D2860049 00029348
	v_add_u32_e32 v72, v72, v73                                // 000000002E44: 68909348
	v_mul_hi_u32 v72, v76, v72                                 // 000000002E48: D2860048 0002914C
	v_mul_lo_u32 v73, v72, s53                                 // 000000002E50: D2850049 00006B48
	v_sub_u32_e32 v75, v76, v73                                // 000000002E58: 6A96934C
	v_add_u32_e32 v74, 1, v72                                  // 000000002E5C: 68949081
	v_cmp_le_u32_e32 vcc, s53, v75                             // 000000002E60: 7D969635
	v_subrev_u32_e32 v73, s53, v75                             // 000000002E64: 6C929635
	s_nop 0                                                    // 000000002E68: BF800000
	v_cndmask_b32_e32 v72, v72, v74, vcc                       // 000000002E6C: 00909548
	v_cndmask_b32_e32 v75, v75, v73, vcc                       // 000000002E70: 0096934B
	v_add_u32_e32 v73, 1, v72                                  // 000000002E74: 68929081
	v_cmp_le_u32_e32 vcc, s53, v75                             // 000000002E78: 7D969635
	s_nop 1                                                    // 000000002E7C: BF800001
	v_cndmask_b32_e32 v78, v72, v73, vcc                       // 000000002E80: 009C9348
	v_add_u32_e32 v105, s54, v78                               // 000000002E84: 68D29C36
	v_cmp_lt_u32_e32 vcc, s62, v105                            // 000000002E88: 7D92D23E
	v_mov_b32_e32 v72, s62                                     // 000000002E8C: 7E90023E
	v_cndmask_b32_e32 v105, v105, v72, vcc                     // 000000002E90: 00D29169
	s_waitcnt vmcnt(18)                                        // 000000002E94: BF8C4F72
	v_lshlrev_b32_e32 v8, 16, v4                               // 000000002E98: 24100890
	v_and_b32_e32 v9, 0xffff0000, v4                           // 000000002E9C: 261208FF FFFF0000
	v_lshlrev_b32_e32 v10, 16, v5                              // 000000002EA4: 24140A90
	v_and_b32_e32 v11, 0xffff0000, v5                          // 000000002EA8: 26160AFF FFFF0000
	v_lshlrev_b32_e32 v12, 16, v6                              // 000000002EB0: 24180C90
	v_and_b32_e32 v13, 0xffff0000, v6                          // 000000002EB4: 261A0CFF FFFF0000
	v_lshlrev_b32_e32 v14, 16, v7                              // 000000002EBC: 241C0E90
	v_and_b32_e32 v15, 0xffff0000, v7                          // 000000002EC0: 261E0EFF FFFF0000
	v_mov_b32_e32 v92, 0x358637bd                              // 000000002EC8: 7EB802FF 358637BD
	v_max3_f32 v92, |v8|, |v9|, v92                            // 000000002ED0: D1D3035C 05721308
	v_max3_f32 v92, |v10|, |v11|, v92                          // 000000002ED8: D1D3035C 0572170A
	v_max3_f32 v92, |v12|, |v13|, v92                          // 000000002EE0: D1D3035C 05721B0C
	v_max3_f32 v92, |v14|, |v15|, v92                          // 000000002EE8: D1D3035C 05721F0E
	ds_write_b32 v122, v92 offset:1280                         // 000000002EF0: D81A0500 00005C7A
	s_waitcnt lgkmcnt(0)                                       // 000000002EF8: BF8CC07F
	s_barrier                                                  // 000000002EFC: BF8A0000
	ds_read_b32 v76, v123 offset:1280                          // 000000002F00: D86C0500 4C00007B
	ds_read_b32 v77, v123 offset:1360                          // 000000002F08: D86C0550 4D00007B
	ds_read_b32 v78, v123 offset:1440                          // 000000002F10: D86C05A0 4E00007B
	ds_read_b32 v79, v123 offset:1520                          // 000000002F18: D86C05F0 4F00007B
	ds_read_b32 v80, v123 offset:1600                          // 000000002F20: D86C0640 5000007B
	ds_read_b32 v81, v123 offset:1680                          // 000000002F28: D86C0690 5100007B
	ds_read_b32 v82, v123 offset:1760                          // 000000002F30: D86C06E0 5200007B
	ds_read_b32 v83, v123 offset:1840                          // 000000002F38: D86C0730 5300007B
	ds_read_b32 v84, v123 offset:1920                          // 000000002F40: D86C0780 5400007B
	ds_read_b32 v85, v123 offset:2000                          // 000000002F48: D86C07D0 5500007B
	ds_read_b32 v86, v123 offset:2080                          // 000000002F50: D86C0820 5600007B
	ds_read_b32 v87, v123 offset:2160                          // 000000002F58: D86C0870 5700007B
	ds_read_b32 v88, v123 offset:2240                          // 000000002F60: D86C08C0 5800007B
	ds_read_b32 v89, v123 offset:2320                          // 000000002F68: D86C0910 5900007B
	ds_read_b32 v90, v123 offset:2400                          // 000000002F70: D86C0960 5A00007B
	ds_read_b32 v91, v123 offset:2480                          // 000000002F78: D86C09B0 5B00007B
	s_waitcnt lgkmcnt(0)                                       // 000000002F80: BF8CC07F
	v_mov_b32_e32 v92, 0x358637bd                              // 000000002F84: 7EB802FF 358637BD
	v_max3_f32 v92, v76, v77, v92                              // 000000002F8C: D1D3005C 05729B4C
	v_max3_f32 v92, v78, v79, v92                              // 000000002F94: D1D3005C 05729F4E
	v_max3_f32 v92, v80, v81, v92                              // 000000002F9C: D1D3005C 0572A350
	v_max3_f32 v92, v82, v83, v92                              // 000000002FA4: D1D3005C 0572A752
	v_max3_f32 v92, v84, v85, v92                              // 000000002FAC: D1D3005C 0572AB54
	v_max3_f32 v92, v86, v87, v92                              // 000000002FB4: D1D3005C 0572AF56
	v_max3_f32 v92, v88, v89, v92                              // 000000002FBC: D1D3005C 0572B358
	v_max3_f32 v92, v90, v91, v92                              // 000000002FC4: D1D3005C 0572B75A
	v_rcp_f32_e32 v92, v92                                     // 000000002FCC: 7EB8455C
	s_lshl_b32 s54, s57, 2                                     // 000000002FD0: 8E368239
	v_lshrrev_b32_e32 v74, 4, v0                               // 000000002FD4: 20940084
	v_add_u32_e32 v74, s54, v74                                // 000000002FD8: 68949436
	v_lshlrev_b32_e32 v74, 2, v74                              // 000000002FDC: 24949482
	v_mul_f32_e32 v92, 0x43700000, v92                         // 000000002FE0: 0AB8B8FF 43700000
	ds_bpermute_b32 v72, v74, v92                              // 000000002FE8: D87E0000 48005C4A
	s_waitcnt lgkmcnt(0)                                       // 000000002FF0: BF8CC07F
	v_mul_f32_e32 v8, v8, v72                                  // 000000002FF4: 0A109108
	v_mul_f32_e32 v9, v9, v72                                  // 000000002FF8: 0A129109
	v_mul_f32_e32 v10, v10, v72                                // 000000002FFC: 0A14910A
	v_mul_f32_e32 v11, v11, v72                                // 000000003000: 0A16910B
	v_mul_f32_e32 v12, v12, v72                                // 000000003004: 0A18910C
	v_mul_f32_e32 v13, v13, v72                                // 000000003008: 0A1A910D
	v_mul_f32_e32 v14, v14, v72                                // 00000000300C: 0A1C910E
	v_mul_f32_e32 v15, v15, v72                                // 000000003010: 0A1E910F
	v_cvt_pk_fp8_f32 v8, v8, v9                                // 000000003014: D2A20008 00021308
	v_cvt_pk_fp8_f32 v8, v10, v11 op_sel:[0,0,1]               // 00000000301C: D2A24008 0002170A
	v_cvt_pk_fp8_f32 v9, v12, v13                              // 000000003024: D2A20009 00021B0C
	v_cvt_pk_fp8_f32 v9, v14, v15 op_sel:[0,0,1]               // 00000000302C: D2A24009 00021F0E
	ds_write_b64 v124, v[8:9] offset:2560                      // 000000003034: D89A0A00 0000087C
	v_rcp_f32_e32 v64, v92                                     // 00000000303C: 7E80455C
	s_nop 0                                                    // 000000003040: BF800000
	v_mov_b32_e32 v65, v64                                     // 000000003044: 7E820340
	s_waitcnt lgkmcnt(0)                                       // 000000003048: BF8CC07F
	s_barrier                                                  // 00000000304C: BF8A0000
	ds_read_b128 v[8:11], v125 offset:2560                     // 000000003050: D9FE0A00 0800007D
	ds_read_b128 v[12:15], v125 offset:2624                    // 000000003058: D9FE0A40 0C00007D
	s_waitcnt lgkmcnt(0)                                       // 000000003060: BF8CC07F
	s_cmp_lt_i32 s57, 2                                        // 000000003064: BF048239
	s_cbranch_scc0 label_0609                                  // 000000003068: BF84036E

000000000000306c <label_029B>:
	s_cmp_lt_i32 s64, s63                                      // 00000000306C: BF043F40
	s_cbranch_scc0 label_0977                                  // 000000003070: BF8406DA
	s_waitcnt vmcnt(10)                                        // 000000003074: BF8C0F7A
	s_lshl_b32 s68, s76, 2                                     // 000000003078: 8E44824C
	s_cmp_lt_u32 s76, s77                                      // 00000000307C: BF0A4D4C
	s_cselect_b32 s68, s68, 0                                  // 000000003080: 85448044
	s_addk_i32 s76, 0x1                                        // 000000003084: B74C0001
	s_load_dword s59, s[42:43], s68                            // 000000003088: C0000ED5 00000044
	s_waitcnt lgkmcnt(0)                                       // 000000003090: BF8CC07F
	s_mul_i32 s69, s59, s50                                    // 000000003094: 9245323B
	s_mul_i32 s71, s59, s66                                    // 000000003098: 9247423B
	s_mul_i32 s54, s78, s51                                    // 00000000309C: 9236334E
	s_add_u32 s69, s69, s54                                    // 0000000030A0: 80453645
	s_mov_b32 s70, s69                                         // 0000000030A4: BEC60045
	s_mul_i32 s54, s78, 4                                      // 0000000030A8: 9236844E
	s_add_u32 s71, s71, s54                                    // 0000000030AC: 80473647
	s_add_u32 s12, s86, s69                                    // 0000000030B0: 800C4556
	s_addc_u32 s13, s87, 0                                     // 0000000030B4: 820D8057
	s_add_u32 s16, s88, s70                                    // 0000000030B8: 80104658
	s_addc_u32 s17, s89, 0                                     // 0000000030BC: 82118059
	s_add_u32 s20, s90, s71                                    // 0000000030C0: 8014475A
	s_addc_u32 s21, s91, 0                                     // 0000000030C4: 8215805B
	s_add_u32 s24, s92, s71                                    // 0000000030C8: 8018475C
	s_addc_u32 s25, s93, 0                                     // 0000000030CC: 8219805D
	v_mfma_f32_16x16x32_fp8_fp8 v[16:19], a[0:1], v[8:9], 0    // 0000000030D0: D3F30010 0A021100
	v_mfma_f32_16x16x32_fp8_fp8 v[16:19], a[2:3], v[10:11], v[16:19]// 0000000030D8: D3F30010 0C421502
	v_mfma_f32_16x16x32_fp8_fp8 v[16:19], a[4:5], v[12:13], v[16:19]// 0000000030E0: D3F30010 0C421904
	buffer_load_dwordx4 a[32:35], v110, s[12:15], 0 offen      // 0000000030E8: E05C1000 8083206E
	v_mfma_f32_16x16x32_fp8_fp8 v[16:19], a[6:7], v[14:15], v[16:19]// 0000000030F0: D3F30010 0C421D06
	v_mfma_f32_16x16x32_fp8_fp8 v[20:23], a[8:9], v[8:9], 0    // 0000000030F8: D3F30014 0A021108
	v_mfma_f32_16x16x32_fp8_fp8 v[20:23], a[10:11], v[10:11], v[20:23]// 000000003100: D3F30014 0C52150A
	v_mfma_f32_16x16x32_fp8_fp8 v[20:23], a[12:13], v[12:13], v[20:23]// 000000003108: D3F30014 0C52190C
	buffer_load_dwordx4 a[36:39], v111, s[12:15], 0 offen      // 000000003110: E05C1000 8083246F
	v_mfma_f32_16x16x32_fp8_fp8 v[20:23], a[14:15], v[14:15], v[20:23]// 000000003118: D3F30014 0C521D0E
	v_mfma_f32_16x16x32_fp8_fp8 v[24:27], a[16:17], v[8:9], 0  // 000000003120: D3F30018 0A021110
	v_mfma_f32_16x16x32_fp8_fp8 v[24:27], a[18:19], v[10:11], v[24:27]// 000000003128: D3F30018 0C621512
	v_mfma_f32_16x16x32_fp8_fp8 v[24:27], a[20:21], v[12:13], v[24:27]// 000000003130: D3F30018 0C621914
	buffer_load_dwordx4 a[40:43], v110, s[12:15], 0 offen offset:1024// 000000003138: E05C1400 8083286E
	v_mfma_f32_16x16x32_fp8_fp8 v[24:27], a[22:23], v[14:15], v[24:27]// 000000003140: D3F30018 0C621D16
	v_mfma_f32_16x16x32_fp8_fp8 v[28:31], a[24:25], v[8:9], 0  // 000000003148: D3F3001C 0A021118
	v_mfma_f32_16x16x32_fp8_fp8 v[28:31], a[26:27], v[10:11], v[28:31]// 000000003150: D3F3001C 0C72151A
	v_mfma_f32_16x16x32_fp8_fp8 v[28:31], a[28:29], v[12:13], v[28:31]// 000000003158: D3F3001C 0C72191C
	buffer_load_dwordx4 a[44:47], v111, s[12:15], 0 offen offset:1024// 000000003160: E05C1400 80832C6F
	v_mfma_f32_16x16x32_fp8_fp8 v[28:31], a[30:31], v[14:15], v[28:31]// 000000003168: D3F3001C 0C721D1E
	s_waitcnt vmcnt(12)                                        // 000000003170: BF8C0F7C
	v_pk_mul_f32 v[16:17], v[64:65], v[16:17]                  // 000000003174: D3B14010 18022140
	v_pk_mul_f32 v[18:19], v[64:65], v[18:19]                  // 00000000317C: D3B14012 18022540
	v_mul_f32_dpp v16, v66, v16 row_newbcast:0 row_mask:0xf bank_mask:0xf// 000000003184: 0A2020FA FF015042
	v_mul_f32_dpp v17, v66, v17 row_newbcast:1 row_mask:0xf bank_mask:0xf// 00000000318C: 0A2222FA FF015142
	v_mul_f32_dpp v18, v66, v18 row_newbcast:2 row_mask:0xf bank_mask:0xf// 000000003194: 0A2424FA FF015242
	v_mul_f32_dpp v19, v66, v19 row_newbcast:3 row_mask:0xf bank_mask:0xf// 00000000319C: 0A2626FA FF015342
	v_pk_mul_f32 v[20:21], v[64:65], v[20:21]                  // 0000000031A4: D3B14014 18022940
	v_pk_mul_f32 v[22:23], v[64:65], v[22:23]                  // 0000000031AC: D3B14016 18022D40
	v_mul_f32_dpp v20, v66, v20 row_newbcast:4 row_mask:0xf bank_mask:0xf// 0000000031B4: 0A2828FA FF015442
	v_mul_f32_dpp v21, v66, v21 row_newbcast:5 row_mask:0xf bank_mask:0xf// 0000000031BC: 0A2A2AFA FF015542
	v_mul_f32_dpp v22, v66, v22 row_newbcast:6 row_mask:0xf bank_mask:0xf// 0000000031C4: 0A2C2CFA FF015642
	v_mul_f32_dpp v23, v66, v23 row_newbcast:7 row_mask:0xf bank_mask:0xf// 0000000031CC: 0A2E2EFA FF015742
	v_pk_mul_f32 v[24:25], v[64:65], v[24:25]                  // 0000000031D4: D3B14018 18023140
	v_pk_mul_f32 v[26:27], v[64:65], v[26:27]                  // 0000000031DC: D3B1401A 18023540
	v_mul_f32_dpp v24, v66, v24 row_newbcast:8 row_mask:0xf bank_mask:0xf// 0000000031E4: 0A3030FA FF015842
	v_mul_f32_dpp v25, v66, v25 row_newbcast:9 row_mask:0xf bank_mask:0xf// 0000000031EC: 0A3232FA FF015942
	v_mul_f32_dpp v26, v66, v26 row_newbcast:10 row_mask:0xf bank_mask:0xf// 0000000031F4: 0A3434FA FF015A42
	v_mul_f32_dpp v27, v66, v27 row_newbcast:11 row_mask:0xf bank_mask:0xf// 0000000031FC: 0A3636FA FF015B42
	v_pk_mul_f32 v[28:29], v[64:65], v[28:29]                  // 000000003204: D3B1401C 18023940
	v_pk_mul_f32 v[30:31], v[64:65], v[30:31]                  // 00000000320C: D3B1401E 18023D40
	v_mul_f32_dpp v28, v66, v28 row_newbcast:12 row_mask:0xf bank_mask:0xf// 000000003214: 0A3838FA FF015C42
	v_mul_f32_dpp v29, v66, v29 row_newbcast:13 row_mask:0xf bank_mask:0xf// 00000000321C: 0A3A3AFA FF015D42
	v_mul_f32_dpp v30, v66, v30 row_newbcast:14 row_mask:0xf bank_mask:0xf// 000000003224: 0A3C3CFA FF015E42
	v_mul_f32_dpp v31, v66, v31 row_newbcast:15 row_mask:0xf bank_mask:0xf// 00000000322C: 0A3E3EFA FF015F42
	buffer_load_dwordx4 a[48:51], v110, s[12:15], 0 offen offset:2048// 000000003234: E05C1800 8083306E
	v_mov_b32_e32 v92, v16                                     // 00000000323C: 7EB80310
	v_max3_f32 v92, v16, v17, v92                              // 000000003240: D1D3005C 05722310
	v_max3_f32 v92, v18, v19, v92                              // 000000003248: D1D3005C 05722712
	v_max3_f32 v92, v20, v21, v92                              // 000000003250: D1D3005C 05722B14
	v_max3_f32 v92, v22, v23, v92                              // 000000003258: D1D3005C 05722F16
	v_max3_f32 v92, v24, v25, v92                              // 000000003260: D1D3005C 05723318
	v_max3_f32 v92, v26, v27, v92                              // 000000003268: D1D3005C 0572371A
	v_max3_f32 v92, v28, v29, v92                              // 000000003270: D1D3005C 05723B1C
	v_max3_f32 v92, v30, v31, v92                              // 000000003278: D1D3005C 05723F1E
	ds_write_b32 v128, v92                                     // 000000003280: D81A0000 00005C80
	v_pk_mul_f32 v[56:57], v[94:95], v[56:57]                  // 000000003288: D3B14038 1802715E
	v_pk_mul_f32 v[58:59], v[94:95], v[58:59]                  // 000000003290: D3B1403A 1802755E
	v_pk_mul_f32 v[60:61], v[94:95], v[60:61]                  // 000000003298: D3B1403C 1802795E
	v_pk_mul_f32 v[62:63], v[94:95], v[62:63]                  // 0000000032A0: D3B1403E 18027D5E
	buffer_load_dwordx4 a[52:55], v111, s[12:15], 0 offen offset:2048// 0000000032A8: E05C1800 8083346F
	s_waitcnt lgkmcnt(0)                                       // 0000000032B0: BF8CC07F
	s_barrier                                                  // 0000000032B4: BF8A0000
	ds_read_b32 v76, v129                                      // 0000000032B8: D86C0000 4C000081
	ds_read_b32 v77, v129 offset:64                            // 0000000032C0: D86C0040 4D000081
	ds_read_b32 v78, v129 offset:128                           // 0000000032C8: D86C0080 4E000081
	ds_read_b32 v79, v129 offset:192                           // 0000000032D0: D86C00C0 4F000081
	ds_read_b32 v80, v129 offset:256                           // 0000000032D8: D86C0100 50000081
	ds_read_b32 v81, v129 offset:320                           // 0000000032E0: D86C0140 51000081
	ds_read_b32 v82, v129 offset:384                           // 0000000032E8: D86C0180 52000081
	ds_read_b32 v83, v129 offset:448                           // 0000000032F0: D86C01C0 53000081
	ds_read_b32 v84, v129 offset:512                           // 0000000032F8: D86C0200 54000081
	ds_read_b32 v85, v129 offset:576                           // 000000003300: D86C0240 55000081
	ds_read_b32 v86, v129 offset:640                           // 000000003308: D86C0280 56000081
	ds_read_b32 v87, v129 offset:704                           // 000000003310: D86C02C0 57000081
	ds_read_b32 v88, v129 offset:768                           // 000000003318: D86C0300 58000081
	ds_read_b32 v89, v129 offset:832                           // 000000003320: D86C0340 59000081
	ds_read_b32 v90, v129 offset:896                           // 000000003328: D86C0380 5A000081
	ds_read_b32 v91, v129 offset:960                           // 000000003330: D86C03C0 5B000081
	buffer_load_dwordx4 a[60:63], v111, s[12:15], 0 offen offset:3072// 000000003338: E05C1C00 80833C6F
	v_pk_mul_f32 v[48:49], v[70:71], v[48:49]                  // 000000003340: D3B14030 18026146
	v_pk_mul_f32 v[50:51], v[70:71], v[50:51]                  // 000000003348: D3B14032 18026546
	v_pk_mul_f32 v[52:53], v[70:71], v[52:53]                  // 000000003350: D3B14034 18026946
	v_pk_mul_f32 v[54:55], v[70:71], v[54:55]                  // 000000003358: D3B14036 18026D46
	buffer_load_dwordx4 a[56:59], v110, s[12:15], 0 offen offset:3072// 000000003360: E05C1C00 8083386E
	s_waitcnt lgkmcnt(0)                                       // 000000003368: BF8CC07F
	v_max3_f32 v92, v76, v77, v92                              // 00000000336C: D1D3005C 05729B4C
	v_max3_f32 v92, v78, v79, v92                              // 000000003374: D1D3005C 05729F4E
	v_max3_f32 v92, v80, v81, v92                              // 00000000337C: D1D3005C 0572A350
	v_max3_f32 v92, v82, v83, v92                              // 000000003384: D1D3005C 0572A752
	v_max3_f32 v92, v84, v85, v92                              // 00000000338C: D1D3005C 0572AB54
	v_max3_f32 v92, v86, v87, v92                              // 000000003394: D1D3005C 0572AF56
	v_max3_f32 v92, v88, v89, v92                              // 00000000339C: D1D3005C 0572B358
	v_max3_f32 v92, v90, v91, v92                              // 0000000033A4: D1D3005C 0572B75A
	v_max_f32_e32 v97, v92, v96                                // 0000000033AC: 16C2C15C
	v_mul_f32_e64 v72, -s46, v97                               // 0000000033B0: D1050048 2002C22E
	v_mov_b32_e32 v73, v72                                     // 0000000033B8: 7E920348
	v_pk_fma_f32 v[16:17], v[16:17], s[46:47], v[72:73]        // 0000000033BC: D3B04010 1D205D10
	v_pk_fma_f32 v[18:19], v[18:19], s[46:47], v[72:73]        // 0000000033C4: D3B04012 1D205D12
	v_exp_f32_e32 v16, v16                                     // 0000000033CC: 7E204110
	v_exp_f32_e32 v17, v17                                     // 0000000033D0: 7E224111
	v_exp_f32_e32 v18, v18                                     // 0000000033D4: 7E244112
	v_exp_f32_e32 v19, v19                                     // 0000000033D8: 7E264113
	v_pk_fma_f32 v[20:21], v[20:21], s[46:47], v[72:73]        // 0000000033DC: D3B04014 1D205D14
	v_pk_fma_f32 v[22:23], v[22:23], s[46:47], v[72:73]        // 0000000033E4: D3B04016 1D205D16
	v_exp_f32_e32 v20, v20                                     // 0000000033EC: 7E284114
	v_exp_f32_e32 v21, v21                                     // 0000000033F0: 7E2A4115
	v_exp_f32_e32 v22, v22                                     // 0000000033F4: 7E2C4116
	v_exp_f32_e32 v23, v23                                     // 0000000033F8: 7E2E4117
	v_pk_fma_f32 v[24:25], v[24:25], s[46:47], v[72:73]        // 0000000033FC: D3B04018 1D205D18
	v_pk_fma_f32 v[26:27], v[26:27], s[46:47], v[72:73]        // 000000003404: D3B0401A 1D205D1A
	v_exp_f32_e32 v24, v24                                     // 00000000340C: 7E304118
	v_exp_f32_e32 v25, v25                                     // 000000003410: 7E324119
	v_exp_f32_e32 v26, v26                                     // 000000003414: 7E34411A
	v_exp_f32_e32 v27, v27                                     // 000000003418: 7E36411B
	v_pk_fma_f32 v[28:29], v[28:29], s[46:47], v[72:73]        // 00000000341C: D3B0401C 1D205D1C
	v_pk_fma_f32 v[30:31], v[30:31], s[46:47], v[72:73]        // 000000003424: D3B0401E 1D205D1E
	v_exp_f32_e32 v28, v28                                     // 00000000342C: 7E38411C
	v_exp_f32_e32 v29, v29                                     // 000000003430: 7E3A411D
	v_exp_f32_e32 v30, v30                                     // 000000003434: 7E3C411E
	v_exp_f32_e32 v31, v31                                     // 000000003438: 7E3E411F
	v_mul_f32_dpp v32, v68, v16 row_newbcast:0 row_mask:0xf bank_mask:0xf// 00000000343C: 0A4020FA FF015044
	v_mul_f32_dpp v33, v68, v17 row_newbcast:1 row_mask:0xf bank_mask:0xf// 000000003444: 0A4222FA FF015144
	v_mul_f32_dpp v34, v68, v18 row_newbcast:2 row_mask:0xf bank_mask:0xf// 00000000344C: 0A4424FA FF015244
	v_mul_f32_dpp v35, v68, v19 row_newbcast:3 row_mask:0xf bank_mask:0xf// 000000003454: 0A4626FA FF015344
	v_mul_f32_dpp v36, v68, v20 row_newbcast:4 row_mask:0xf bank_mask:0xf// 00000000345C: 0A4828FA FF015444
	v_mul_f32_dpp v37, v68, v21 row_newbcast:5 row_mask:0xf bank_mask:0xf// 000000003464: 0A4A2AFA FF015544
	v_mul_f32_dpp v38, v68, v22 row_newbcast:6 row_mask:0xf bank_mask:0xf// 00000000346C: 0A4C2CFA FF015644
	v_mul_f32_dpp v39, v68, v23 row_newbcast:7 row_mask:0xf bank_mask:0xf// 000000003474: 0A4E2EFA FF015744
	v_mul_f32_dpp v40, v68, v24 row_newbcast:8 row_mask:0xf bank_mask:0xf// 00000000347C: 0A5030FA FF015844
	v_mul_f32_dpp v41, v68, v25 row_newbcast:9 row_mask:0xf bank_mask:0xf// 000000003484: 0A5232FA FF015944
	v_mul_f32_dpp v42, v68, v26 row_newbcast:10 row_mask:0xf bank_mask:0xf// 00000000348C: 0A5434FA FF015A44
	v_mul_f32_dpp v43, v68, v27 row_newbcast:11 row_mask:0xf bank_mask:0xf// 000000003494: 0A5636FA FF015B44
	v_mul_f32_dpp v44, v68, v28 row_newbcast:12 row_mask:0xf bank_mask:0xf// 00000000349C: 0A5838FA FF015C44
	v_mul_f32_dpp v45, v68, v29 row_newbcast:13 row_mask:0xf bank_mask:0xf// 0000000034A4: 0A5A3AFA FF015D44
	v_mul_f32_dpp v46, v68, v30 row_newbcast:14 row_mask:0xf bank_mask:0xf// 0000000034AC: 0A5C3CFA FF015E44
	v_mul_f32_dpp v47, v68, v31 row_newbcast:15 row_mask:0xf bank_mask:0xf// 0000000034B4: 0A5E3EFA FF015F44
	buffer_load_dword v67, v116, s[20:23], 0 offen             // 0000000034BC: E0501000 80054374
	v_sub_f32_e32 v94, v96, v97                                // 0000000034C4: 04BCC360
	v_cmp_eq_u32_e64 s[98:99], v107, v96                       // 0000000034C8: D0CA0062 0002C16B
	s_nop 0                                                    // 0000000034D0: BF800000
	v_cndmask_b32_e64 v94, v94, 0, s[98:99]                    // 0000000034D4: D100005E 0189015E
	v_mov_b32_e32 v96, v97                                     // 0000000034DC: 7EC00361
	v_mul_f32_e32 v94, s46, v94                                // 0000000034E0: 0ABCBC2E
	v_exp_f32_e32 v94, v94                                     // 0000000034E4: 7EBC415E
	s_nop 0                                                    // 0000000034E8: BF800000
	v_mov_b32_e32 v95, v94                                     // 0000000034EC: 7EBE035E
	buffer_load_dword v69, v117, s[24:27], 0 offen             // 0000000034F0: E0501000 80064575
	s_waitcnt lgkmcnt(0)                                       // 0000000034F8: BF8CC07F
	s_barrier                                                  // 0000000034FC: BF8A0000
	buffer_load_dwordx4 a[96:99], v112, s[16:19], 0 offen      // 000000003500: E05C1000 80846070
	v_mul_f32_e32 v98, v94, v98                                // 000000003508: 0AC4C55E
	v_add_f32_e32 v98, v16, v98                                // 00000000350C: 02C4C510
	v_add_f32_e32 v98, v17, v98                                // 000000003510: 02C4C511
	v_add_f32_e32 v98, v18, v98                                // 000000003514: 02C4C512
	v_add_f32_e32 v98, v19, v98                                // 000000003518: 02C4C513
	v_add_f32_e32 v98, v20, v98                                // 00000000351C: 02C4C514
	v_add_f32_e32 v98, v21, v98                                // 000000003520: 02C4C515
	v_add_f32_e32 v98, v22, v98                                // 000000003524: 02C4C516
	v_add_f32_e32 v98, v23, v98                                // 000000003528: 02C4C517
	v_add_f32_e32 v98, v24, v98                                // 00000000352C: 02C4C518
	v_add_f32_e32 v98, v25, v98                                // 000000003530: 02C4C519
	v_add_f32_e32 v98, v26, v98                                // 000000003534: 02C4C51A
	v_add_f32_e32 v98, v27, v98                                // 000000003538: 02C4C51B
	v_add_f32_e32 v98, v28, v98                                // 00000000353C: 02C4C51C
	v_add_f32_e32 v98, v29, v98                                // 000000003540: 02C4C51D
	v_add_f32_e32 v98, v30, v98                                // 000000003544: 02C4C51E
	v_add_f32_e32 v98, v31, v98                                // 000000003548: 02C4C51F
	buffer_load_dwordx4 a[100:103], v113, s[16:19], 0 offen    // 00000000354C: E05C1000 80846471
	s_waitcnt lgkmcnt(0)                                       // 000000003554: BF8CC07F
	v_sub_f32_e32 v92, v92, v96                                // 000000003558: 04B8C15C
	v_mul_f32_e32 v92, s46, v92                                // 00000000355C: 0AB8B82E
	v_exp_f32_e32 v92, v92                                     // 000000003560: 7EB8415C
	s_nop 0                                                    // 000000003564: BF800000
	v_mul_f32_e32 v92, v68, v92                                // 000000003568: 0AB8B944
	v_add_f32_e32 v92, 0x3089705f, v92                         // 00000000356C: 02B8B8FF 3089705F
	v_rcp_f32_e32 v92, v92                                     // 000000003574: 7EB8455C
	s_nop 0                                                    // 000000003578: BF800000
	v_mul_f32_e32 v92, 0x43700000, v92                         // 00000000357C: 0AB8B8FF 43700000
	v_mov_b32_e32 v93, v92                                     // 000000003584: 7EBA035C
	v_pk_mul_f32 v[16:17], v[92:93], v[32:33]                  // 000000003588: D3B14010 1802415C
	v_pk_mul_f32 v[18:19], v[92:93], v[34:35]                  // 000000003590: D3B14012 1802455C
	v_pk_mul_f32 v[20:21], v[92:93], v[36:37]                  // 000000003598: D3B14014 1802495C
	v_pk_mul_f32 v[22:23], v[92:93], v[38:39]                  // 0000000035A0: D3B14016 18024D5C
	v_pk_mul_f32 v[24:25], v[92:93], v[40:41]                  // 0000000035A8: D3B14018 1802515C
	v_pk_mul_f32 v[26:27], v[92:93], v[42:43]                  // 0000000035B0: D3B1401A 1802555C
	v_pk_mul_f32 v[28:29], v[92:93], v[44:45]                  // 0000000035B8: D3B1401C 1802595C
	v_pk_mul_f32 v[30:31], v[92:93], v[46:47]                  // 0000000035C0: D3B1401E 18025D5C
	v_cvt_pk_fp8_f32 v16, v16, v17                             // 0000000035C8: D2A20010 00022310
	v_cvt_pk_fp8_f32 v16, v18, v19 op_sel:[0,0,1]              // 0000000035D0: D2A24010 00022712
	v_cvt_pk_fp8_f32 v17, v20, v21                             // 0000000035D8: D2A20011 00022B14
	v_cvt_pk_fp8_f32 v17, v22, v23 op_sel:[0,0,1]              // 0000000035E0: D2A24011 00022F16
	v_cvt_pk_fp8_f32 v18, v24, v25                             // 0000000035E8: D2A20012 00023318
	v_cvt_pk_fp8_f32 v18, v26, v27 op_sel:[0,0,1]              // 0000000035F0: D2A24012 0002371A
	v_cvt_pk_fp8_f32 v19, v28, v29                             // 0000000035F8: D2A20013 00023B1C
	v_cvt_pk_fp8_f32 v19, v30, v31 op_sel:[0,0,1]              // 000000003600: D2A24013 00023F1E
	ds_write_b32 v130, v16 offset:2560                         // 000000003608: D81A0A00 00001082
	ds_write_b32 v130, v17 offset:3584                         // 000000003610: D81A0E00 00001182
	ds_write_b32 v130, v18 offset:4608                         // 000000003618: D81A1200 00001282
	ds_write_b32 v130, v19 offset:5632                         // 000000003620: D81A1600 00001382
	v_rcp_f32_e32 v70, v92                                     // 000000003628: 7E8C455C
	s_nop 0                                                    // 00000000362C: BF800000
	v_mov_b32_e32 v71, v70                                     // 000000003630: 7E8E0346
	buffer_load_dwordx4 a[104:107], v114, s[16:19], 0 offen    // 000000003634: E05C1000 80846872
	v_pk_add_f32 v[56:57], v[56:57], v[48:49]                  // 00000000363C: D3B24038 18026138
	v_pk_add_f32 v[58:59], v[58:59], v[50:51]                  // 000000003644: D3B2403A 1802653A
	v_pk_add_f32 v[60:61], v[60:61], v[52:53]                  // 00000000364C: D3B2403C 1802693C
	v_pk_add_f32 v[62:63], v[62:63], v[54:55]                  // 000000003654: D3B2403E 18026D3E
	s_waitcnt lgkmcnt(0)                                       // 00000000365C: BF8CC07F
	s_barrier                                                  // 000000003660: BF8A0000
	ds_read_b128 v[16:19], v131 offset:2560                    // 000000003664: D9FE0A00 10000083
	ds_read_b128 v[20:23], v131 offset:3584                    // 00000000366C: D9FE0E00 14000083
	ds_read_b128 v[24:27], v131 offset:4608                    // 000000003674: D9FE1200 18000083
	ds_read_b128 v[28:31], v131 offset:5632                    // 00000000367C: D9FE1600 1C000083
	buffer_load_dwordx4 a[108:111], v115, s[16:19], 0 offen    // 000000003684: E05C1000 80846C73
	s_waitcnt vmcnt(14)                                        // 00000000368C: BF8C0F7E
	s_waitcnt lgkmcnt(3)                                       // 000000003690: BF8CC37F
	v_mfma_f32_16x16x32_fp8_fp8 v[48:51], a[64:65], v[16:17], 0// 000000003694: D3F30030 0A022140
	v_mfma_f32_16x16x32_fp8_fp8 v[52:55], a[80:81], v[16:17], 0// 00000000369C: D3F30034 0A022150
	v_mfma_f32_16x16x32_fp8_fp8 v[48:51], a[66:67], v[18:19], v[48:51]// 0000000036A4: D3F30030 0CC22542
	buffer_load_dwordx4 a[112:115], v112, s[16:19], 0 offen offset:1024// 0000000036AC: E05C1400 80847070
	v_mfma_f32_16x16x32_fp8_fp8 v[52:55], a[82:83], v[18:19], v[52:55]// 0000000036B4: D3F30034 0CD22552
	s_waitcnt lgkmcnt(2)                                       // 0000000036BC: BF8CC27F
	v_mfma_f32_16x16x32_fp8_fp8 v[48:51], a[68:69], v[20:21], v[48:51]// 0000000036C0: D3F30030 0CC22944
	v_mfma_f32_16x16x32_fp8_fp8 v[52:55], a[84:85], v[20:21], v[52:55]// 0000000036C8: D3F30034 0CD22954
	v_mfma_f32_16x16x32_fp8_fp8 v[48:51], a[70:71], v[22:23], v[48:51]// 0000000036D0: D3F30030 0CC22D46
	buffer_load_dwordx4 a[116:119], v113, s[16:19], 0 offen offset:1024// 0000000036D8: E05C1400 80847471
	v_mfma_f32_16x16x32_fp8_fp8 v[52:55], a[86:87], v[22:23], v[52:55]// 0000000036E0: D3F30034 0CD22D56
	s_waitcnt lgkmcnt(1)                                       // 0000000036E8: BF8CC17F
	v_mfma_f32_16x16x32_fp8_fp8 v[48:51], a[72:73], v[24:25], v[48:51]// 0000000036EC: D3F30030 0CC23148
	v_mfma_f32_16x16x32_fp8_fp8 v[52:55], a[88:89], v[24:25], v[52:55]// 0000000036F4: D3F30034 0CD23158
	v_mfma_f32_16x16x32_fp8_fp8 v[48:51], a[74:75], v[26:27], v[48:51]// 0000000036FC: D3F30030 0CC2354A
	buffer_load_dwordx4 a[120:123], v114, s[16:19], 0 offen offset:1024// 000000003704: E05C1400 80847872
	v_mfma_f32_16x16x32_fp8_fp8 v[52:55], a[90:91], v[26:27], v[52:55]// 00000000370C: D3F30034 0CD2355A
	s_waitcnt lgkmcnt(0)                                       // 000000003714: BF8CC07F
	v_mfma_f32_16x16x32_fp8_fp8 v[48:51], a[76:77], v[28:29], v[48:51]// 000000003718: D3F30030 0CC2394C
	v_mfma_f32_16x16x32_fp8_fp8 v[52:55], a[92:93], v[28:29], v[52:55]// 000000003720: D3F30034 0CD2395C
	v_mfma_f32_16x16x32_fp8_fp8 v[48:51], a[78:79], v[30:31], v[48:51]// 000000003728: D3F30030 0CC23D4E
	buffer_load_dwordx4 a[124:127], v115, s[16:19], 0 offen offset:1024// 000000003730: E05C1400 80847C73
	v_mfma_f32_16x16x32_fp8_fp8 v[52:55], a[94:95], v[30:31], v[52:55]// 000000003738: D3F30034 0CD23D5E
	s_addk_i32 s64, 0x100                                      // 000000003740: B7400100
	s_branch label_0452                                        // 000000003744: BF820000

0000000000003748 <label_0452>:
	s_cmp_lt_i32 s64, s63                                      // 000000003748: BF043F40
	s_cbranch_scc0 label_0D37                                  // 00000000374C: BF8408E3
	s_waitcnt vmcnt(10)                                        // 000000003750: BF8C0F7A
	s_lshl_b32 s68, s76, 2                                     // 000000003754: 8E44824C
	s_cmp_lt_u32 s76, s77                                      // 000000003758: BF0A4D4C
	s_cselect_b32 s68, s68, 0                                  // 00000000375C: 85448044
	s_addk_i32 s76, 0x1                                        // 000000003760: B74C0001
	s_load_dword s59, s[42:43], s68                            // 000000003764: C0000ED5 00000044
	s_waitcnt lgkmcnt(0)                                       // 00000000376C: BF8CC07F
	s_mul_i32 s69, s59, s50                                    // 000000003770: 9245323B
	s_mul_i32 s71, s59, s66                                    // 000000003774: 9247423B
	s_mul_i32 s54, s78, s51                                    // 000000003778: 9236334E
	s_add_u32 s69, s69, s54                                    // 00000000377C: 80453645
	s_mov_b32 s70, s69                                         // 000000003780: BEC60045
	s_mul_i32 s54, s78, 4                                      // 000000003784: 9236844E
	s_add_u32 s71, s71, s54                                    // 000000003788: 80473647
	s_add_u32 s12, s86, s69                                    // 00000000378C: 800C4556
	s_addc_u32 s13, s87, 0                                     // 000000003790: 820D8057
	s_add_u32 s16, s88, s70                                    // 000000003794: 80104658
	s_addc_u32 s17, s89, 0                                     // 000000003798: 82118059
	s_add_u32 s20, s90, s71                                    // 00000000379C: 8014475A
	s_addc_u32 s21, s91, 0                                     // 0000000037A0: 8215805B
	s_add_u32 s24, s92, s71                                    // 0000000037A4: 8018475C
	s_addc_u32 s25, s93, 0                                     // 0000000037A8: 8219805D
	v_mfma_f32_16x16x32_fp8_fp8 v[16:19], a[32:33], v[8:9], 0  // 0000000037AC: D3F30010 0A021120
	v_mfma_f32_16x16x32_fp8_fp8 v[16:19], a[34:35], v[10:11], v[16:19]// 0000000037B4: D3F30010 0C421522
	v_mfma_f32_16x16x32_fp8_fp8 v[16:19], a[36:37], v[12:13], v[16:19]// 0000000037BC: D3F30010 0C421924
	buffer_load_dwordx4 a[0:3], v110, s[12:15], 0 offen        // 0000000037C4: E05C1000 8083006E
	v_mfma_f32_16x16x32_fp8_fp8 v[16:19], a[38:39], v[14:15], v[16:19]// 0000000037CC: D3F30010 0C421D26
	v_mfma_f32_16x16x32_fp8_fp8 v[20:23], a[40:41], v[8:9], 0  // 0000000037D4: D3F30014 0A021128
	v_mfma_f32_16x16x32_fp8_fp8 v[20:23], a[42:43], v[10:11], v[20:23]// 0000000037DC: D3F30014 0C52152A
	v_mfma_f32_16x16x32_fp8_fp8 v[20:23], a[44:45], v[12:13], v[20:23]// 0000000037E4: D3F30014 0C52192C
	buffer_load_dwordx4 a[4:7], v111, s[12:15], 0 offen        // 0000000037EC: E05C1000 8083046F
	v_mfma_f32_16x16x32_fp8_fp8 v[20:23], a[46:47], v[14:15], v[20:23]// 0000000037F4: D3F30014 0C521D2E
	v_mfma_f32_16x16x32_fp8_fp8 v[24:27], a[48:49], v[8:9], 0  // 0000000037FC: D3F30018 0A021130
	v_mfma_f32_16x16x32_fp8_fp8 v[24:27], a[50:51], v[10:11], v[24:27]// 000000003804: D3F30018 0C621532
	v_mfma_f32_16x16x32_fp8_fp8 v[24:27], a[52:53], v[12:13], v[24:27]// 00000000380C: D3F30018 0C621934
	buffer_load_dwordx4 a[8:11], v110, s[12:15], 0 offen offset:1024// 000000003814: E05C1400 8083086E
	v_mfma_f32_16x16x32_fp8_fp8 v[24:27], a[54:55], v[14:15], v[24:27]// 00000000381C: D3F30018 0C621D36
	v_mfma_f32_16x16x32_fp8_fp8 v[28:31], a[56:57], v[8:9], 0  // 000000003824: D3F3001C 0A021138
	v_mfma_f32_16x16x32_fp8_fp8 v[28:31], a[58:59], v[10:11], v[28:31]// 00000000382C: D3F3001C 0C72153A
	v_mfma_f32_16x16x32_fp8_fp8 v[28:31], a[60:61], v[12:13], v[28:31]// 000000003834: D3F3001C 0C72193C
	buffer_load_dwordx4 a[12:15], v111, s[12:15], 0 offen offset:1024// 00000000383C: E05C1400 80830C6F
	v_mfma_f32_16x16x32_fp8_fp8 v[28:31], a[62:63], v[14:15], v[28:31]// 000000003844: D3F3001C 0C721D3E
	s_waitcnt vmcnt(12)                                        // 00000000384C: BF8C0F7C
	v_pk_mul_f32 v[16:17], v[64:65], v[16:17]                  // 000000003850: D3B14010 18022140
	v_pk_mul_f32 v[18:19], v[64:65], v[18:19]                  // 000000003858: D3B14012 18022540
	v_mul_f32_dpp v16, v67, v16 row_newbcast:0 row_mask:0xf bank_mask:0xf// 000000003860: 0A2020FA FF015043
	v_mul_f32_dpp v17, v67, v17 row_newbcast:1 row_mask:0xf bank_mask:0xf// 000000003868: 0A2222FA FF015143
	v_mul_f32_dpp v18, v67, v18 row_newbcast:2 row_mask:0xf bank_mask:0xf// 000000003870: 0A2424FA FF015243
	v_mul_f32_dpp v19, v67, v19 row_newbcast:3 row_mask:0xf bank_mask:0xf// 000000003878: 0A2626FA FF015343
	v_pk_mul_f32 v[20:21], v[64:65], v[20:21]                  // 000000003880: D3B14014 18022940
	v_pk_mul_f32 v[22:23], v[64:65], v[22:23]                  // 000000003888: D3B14016 18022D40
	v_mul_f32_dpp v20, v67, v20 row_newbcast:4 row_mask:0xf bank_mask:0xf// 000000003890: 0A2828FA FF015443
	v_mul_f32_dpp v21, v67, v21 row_newbcast:5 row_mask:0xf bank_mask:0xf// 000000003898: 0A2A2AFA FF015543
	v_mul_f32_dpp v22, v67, v22 row_newbcast:6 row_mask:0xf bank_mask:0xf// 0000000038A0: 0A2C2CFA FF015643
	v_mul_f32_dpp v23, v67, v23 row_newbcast:7 row_mask:0xf bank_mask:0xf// 0000000038A8: 0A2E2EFA FF015743
	v_pk_mul_f32 v[24:25], v[64:65], v[24:25]                  // 0000000038B0: D3B14018 18023140
	v_pk_mul_f32 v[26:27], v[64:65], v[26:27]                  // 0000000038B8: D3B1401A 18023540
	v_mul_f32_dpp v24, v67, v24 row_newbcast:8 row_mask:0xf bank_mask:0xf// 0000000038C0: 0A3030FA FF015843
	v_mul_f32_dpp v25, v67, v25 row_newbcast:9 row_mask:0xf bank_mask:0xf// 0000000038C8: 0A3232FA FF015943
	v_mul_f32_dpp v26, v67, v26 row_newbcast:10 row_mask:0xf bank_mask:0xf// 0000000038D0: 0A3434FA FF015A43
	v_mul_f32_dpp v27, v67, v27 row_newbcast:11 row_mask:0xf bank_mask:0xf// 0000000038D8: 0A3636FA FF015B43
	v_pk_mul_f32 v[28:29], v[64:65], v[28:29]                  // 0000000038E0: D3B1401C 18023940
	v_pk_mul_f32 v[30:31], v[64:65], v[30:31]                  // 0000000038E8: D3B1401E 18023D40
	v_mul_f32_dpp v28, v67, v28 row_newbcast:12 row_mask:0xf bank_mask:0xf// 0000000038F0: 0A3838FA FF015C43
	v_mul_f32_dpp v29, v67, v29 row_newbcast:13 row_mask:0xf bank_mask:0xf// 0000000038F8: 0A3A3AFA FF015D43
	v_mul_f32_dpp v30, v67, v30 row_newbcast:14 row_mask:0xf bank_mask:0xf// 000000003900: 0A3C3CFA FF015E43
	v_mul_f32_dpp v31, v67, v31 row_newbcast:15 row_mask:0xf bank_mask:0xf// 000000003908: 0A3E3EFA FF015F43
	buffer_load_dwordx4 a[16:19], v110, s[12:15], 0 offen offset:2048// 000000003910: E05C1800 8083106E
	v_mov_b32_e32 v92, v16                                     // 000000003918: 7EB80310
	v_max3_f32 v92, v16, v17, v92                              // 00000000391C: D1D3005C 05722310
	v_max3_f32 v92, v18, v19, v92                              // 000000003924: D1D3005C 05722712
	v_max3_f32 v92, v20, v21, v92                              // 00000000392C: D1D3005C 05722B14
	v_max3_f32 v92, v22, v23, v92                              // 000000003934: D1D3005C 05722F16
	v_max3_f32 v92, v24, v25, v92                              // 00000000393C: D1D3005C 05723318
	v_max3_f32 v92, v26, v27, v92                              // 000000003944: D1D3005C 0572371A
	v_max3_f32 v92, v28, v29, v92                              // 00000000394C: D1D3005C 05723B1C
	v_max3_f32 v92, v30, v31, v92                              // 000000003954: D1D3005C 05723F1E
	ds_write_b32 v128, v92                                     // 00000000395C: D81A0000 00005C80
	v_pk_mul_f32 v[56:57], v[94:95], v[56:57]                  // 000000003964: D3B14038 1802715E
	v_pk_mul_f32 v[58:59], v[94:95], v[58:59]                  // 00000000396C: D3B1403A 1802755E
	v_pk_mul_f32 v[60:61], v[94:95], v[60:61]                  // 000000003974: D3B1403C 1802795E
	v_pk_mul_f32 v[62:63], v[94:95], v[62:63]                  // 00000000397C: D3B1403E 18027D5E
	buffer_load_dwordx4 a[20:23], v111, s[12:15], 0 offen offset:2048// 000000003984: E05C1800 8083146F
	s_waitcnt lgkmcnt(0)                                       // 00000000398C: BF8CC07F
	s_barrier                                                  // 000000003990: BF8A0000
	ds_read_b32 v76, v129                                      // 000000003994: D86C0000 4C000081
	ds_read_b32 v77, v129 offset:64                            // 00000000399C: D86C0040 4D000081
	ds_read_b32 v78, v129 offset:128                           // 0000000039A4: D86C0080 4E000081
	ds_read_b32 v79, v129 offset:192                           // 0000000039AC: D86C00C0 4F000081
	ds_read_b32 v80, v129 offset:256                           // 0000000039B4: D86C0100 50000081
	ds_read_b32 v81, v129 offset:320                           // 0000000039BC: D86C0140 51000081
	ds_read_b32 v82, v129 offset:384                           // 0000000039C4: D86C0180 52000081
	ds_read_b32 v83, v129 offset:448                           // 0000000039CC: D86C01C0 53000081
	ds_read_b32 v84, v129 offset:512                           // 0000000039D4: D86C0200 54000081
	ds_read_b32 v85, v129 offset:576                           // 0000000039DC: D86C0240 55000081
	ds_read_b32 v86, v129 offset:640                           // 0000000039E4: D86C0280 56000081
	ds_read_b32 v87, v129 offset:704                           // 0000000039EC: D86C02C0 57000081
	ds_read_b32 v88, v129 offset:768                           // 0000000039F4: D86C0300 58000081
	ds_read_b32 v89, v129 offset:832                           // 0000000039FC: D86C0340 59000081
	ds_read_b32 v90, v129 offset:896                           // 000000003A04: D86C0380 5A000081
	ds_read_b32 v91, v129 offset:960                           // 000000003A0C: D86C03C0 5B000081
	buffer_load_dwordx4 a[28:31], v111, s[12:15], 0 offen offset:3072// 000000003A14: E05C1C00 80831C6F
	v_pk_mul_f32 v[48:49], v[70:71], v[48:49]                  // 000000003A1C: D3B14030 18026146
	v_pk_mul_f32 v[50:51], v[70:71], v[50:51]                  // 000000003A24: D3B14032 18026546
	v_pk_mul_f32 v[52:53], v[70:71], v[52:53]                  // 000000003A2C: D3B14034 18026946
	v_pk_mul_f32 v[54:55], v[70:71], v[54:55]                  // 000000003A34: D3B14036 18026D46
	buffer_load_dwordx4 a[24:27], v110, s[12:15], 0 offen offset:3072// 000000003A3C: E05C1C00 8083186E
	s_waitcnt lgkmcnt(0)                                       // 000000003A44: BF8CC07F
	v_max3_f32 v92, v76, v77, v92                              // 000000003A48: D1D3005C 05729B4C
	v_max3_f32 v92, v78, v79, v92                              // 000000003A50: D1D3005C 05729F4E
	v_max3_f32 v92, v80, v81, v92                              // 000000003A58: D1D3005C 0572A350
	v_max3_f32 v92, v82, v83, v92                              // 000000003A60: D1D3005C 0572A752
	v_max3_f32 v92, v84, v85, v92                              // 000000003A68: D1D3005C 0572AB54
	v_max3_f32 v92, v86, v87, v92                              // 000000003A70: D1D3005C 0572AF56
	v_max3_f32 v92, v88, v89, v92                              // 000000003A78: D1D3005C 0572B358
	v_max3_f32 v92, v90, v91, v92                              // 000000003A80: D1D3005C 0572B75A
	v_max_f32_e32 v97, v92, v96                                // 000000003A88: 16C2C15C
	v_mul_f32_e64 v72, -s46, v97                               // 000000003A8C: D1050048 2002C22E
	v_mov_b32_e32 v73, v72                                     // 000000003A94: 7E920348
	v_pk_fma_f32 v[16:17], v[16:17], s[46:47], v[72:73]        // 000000003A98: D3B04010 1D205D10
	v_pk_fma_f32 v[18:19], v[18:19], s[46:47], v[72:73]        // 000000003AA0: D3B04012 1D205D12
	v_exp_f32_e32 v16, v16                                     // 000000003AA8: 7E204110
	v_exp_f32_e32 v17, v17                                     // 000000003AAC: 7E224111
	v_exp_f32_e32 v18, v18                                     // 000000003AB0: 7E244112
	v_exp_f32_e32 v19, v19                                     // 000000003AB4: 7E264113
	v_pk_fma_f32 v[20:21], v[20:21], s[46:47], v[72:73]        // 000000003AB8: D3B04014 1D205D14
	v_pk_fma_f32 v[22:23], v[22:23], s[46:47], v[72:73]        // 000000003AC0: D3B04016 1D205D16
	v_exp_f32_e32 v20, v20                                     // 000000003AC8: 7E284114
	v_exp_f32_e32 v21, v21                                     // 000000003ACC: 7E2A4115
	v_exp_f32_e32 v22, v22                                     // 000000003AD0: 7E2C4116
	v_exp_f32_e32 v23, v23                                     // 000000003AD4: 7E2E4117
	v_pk_fma_f32 v[24:25], v[24:25], s[46:47], v[72:73]        // 000000003AD8: D3B04018 1D205D18
	v_pk_fma_f32 v[26:27], v[26:27], s[46:47], v[72:73]        // 000000003AE0: D3B0401A 1D205D1A
	v_exp_f32_e32 v24, v24                                     // 000000003AE8: 7E304118
	v_exp_f32_e32 v25, v25                                     // 000000003AEC: 7E324119
	v_exp_f32_e32 v26, v26                                     // 000000003AF0: 7E34411A
	v_exp_f32_e32 v27, v27                                     // 000000003AF4: 7E36411B
	v_pk_fma_f32 v[28:29], v[28:29], s[46:47], v[72:73]        // 000000003AF8: D3B0401C 1D205D1C
	v_pk_fma_f32 v[30:31], v[30:31], s[46:47], v[72:73]        // 000000003B00: D3B0401E 1D205D1E
	v_exp_f32_e32 v28, v28                                     // 000000003B08: 7E38411C
	v_exp_f32_e32 v29, v29                                     // 000000003B0C: 7E3A411D
	v_exp_f32_e32 v30, v30                                     // 000000003B10: 7E3C411E
	v_exp_f32_e32 v31, v31                                     // 000000003B14: 7E3E411F
	v_mul_f32_dpp v32, v69, v16 row_newbcast:0 row_mask:0xf bank_mask:0xf// 000000003B18: 0A4020FA FF015045
	v_mul_f32_dpp v33, v69, v17 row_newbcast:1 row_mask:0xf bank_mask:0xf// 000000003B20: 0A4222FA FF015145
	v_mul_f32_dpp v34, v69, v18 row_newbcast:2 row_mask:0xf bank_mask:0xf// 000000003B28: 0A4424FA FF015245
	v_mul_f32_dpp v35, v69, v19 row_newbcast:3 row_mask:0xf bank_mask:0xf// 000000003B30: 0A4626FA FF015345
	v_mul_f32_dpp v36, v69, v20 row_newbcast:4 row_mask:0xf bank_mask:0xf// 000000003B38: 0A4828FA FF015445
	v_mul_f32_dpp v37, v69, v21 row_newbcast:5 row_mask:0xf bank_mask:0xf// 000000003B40: 0A4A2AFA FF015545
	v_mul_f32_dpp v38, v69, v22 row_newbcast:6 row_mask:0xf bank_mask:0xf// 000000003B48: 0A4C2CFA FF015645
	v_mul_f32_dpp v39, v69, v23 row_newbcast:7 row_mask:0xf bank_mask:0xf// 000000003B50: 0A4E2EFA FF015745
	v_mul_f32_dpp v40, v69, v24 row_newbcast:8 row_mask:0xf bank_mask:0xf// 000000003B58: 0A5030FA FF015845
	v_mul_f32_dpp v41, v69, v25 row_newbcast:9 row_mask:0xf bank_mask:0xf// 000000003B60: 0A5232FA FF015945
	v_mul_f32_dpp v42, v69, v26 row_newbcast:10 row_mask:0xf bank_mask:0xf// 000000003B68: 0A5434FA FF015A45
	v_mul_f32_dpp v43, v69, v27 row_newbcast:11 row_mask:0xf bank_mask:0xf// 000000003B70: 0A5636FA FF015B45
	v_mul_f32_dpp v44, v69, v28 row_newbcast:12 row_mask:0xf bank_mask:0xf// 000000003B78: 0A5838FA FF015C45
	v_mul_f32_dpp v45, v69, v29 row_newbcast:13 row_mask:0xf bank_mask:0xf// 000000003B80: 0A5A3AFA FF015D45
	v_mul_f32_dpp v46, v69, v30 row_newbcast:14 row_mask:0xf bank_mask:0xf// 000000003B88: 0A5C3CFA FF015E45
	v_mul_f32_dpp v47, v69, v31 row_newbcast:15 row_mask:0xf bank_mask:0xf// 000000003B90: 0A5E3EFA FF015F45
	buffer_load_dword v66, v116, s[20:23], 0 offen             // 000000003B98: E0501000 80054274
	v_sub_f32_e32 v94, v96, v97                                // 000000003BA0: 04BCC360
	v_cmp_eq_u32_e64 s[98:99], v107, v96                       // 000000003BA4: D0CA0062 0002C16B
	s_nop 0                                                    // 000000003BAC: BF800000
	v_cndmask_b32_e64 v94, v94, 0, s[98:99]                    // 000000003BB0: D100005E 0189015E
	v_mov_b32_e32 v96, v97                                     // 000000003BB8: 7EC00361
	v_mul_f32_e32 v94, s46, v94                                // 000000003BBC: 0ABCBC2E
	v_exp_f32_e32 v94, v94                                     // 000000003BC0: 7EBC415E
	s_nop 0                                                    // 000000003BC4: BF800000
	v_mov_b32_e32 v95, v94                                     // 000000003BC8: 7EBE035E
	buffer_load_dword v68, v117, s[24:27], 0 offen             // 000000003BCC: E0501000 80064475
	s_waitcnt lgkmcnt(0)                                       // 000000003BD4: BF8CC07F
	s_barrier                                                  // 000000003BD8: BF8A0000
	buffer_load_dwordx4 a[64:67], v112, s[16:19], 0 offen      // 000000003BDC: E05C1000 80844070
	v_mul_f32_e32 v98, v94, v98                                // 000000003BE4: 0AC4C55E
	v_add_f32_e32 v98, v16, v98                                // 000000003BE8: 02C4C510
	v_add_f32_e32 v98, v17, v98                                // 000000003BEC: 02C4C511
	v_add_f32_e32 v98, v18, v98                                // 000000003BF0: 02C4C512
	v_add_f32_e32 v98, v19, v98                                // 000000003BF4: 02C4C513
	v_add_f32_e32 v98, v20, v98                                // 000000003BF8: 02C4C514
	v_add_f32_e32 v98, v21, v98                                // 000000003BFC: 02C4C515
	v_add_f32_e32 v98, v22, v98                                // 000000003C00: 02C4C516
	v_add_f32_e32 v98, v23, v98                                // 000000003C04: 02C4C517
	v_add_f32_e32 v98, v24, v98                                // 000000003C08: 02C4C518
	v_add_f32_e32 v98, v25, v98                                // 000000003C0C: 02C4C519
	v_add_f32_e32 v98, v26, v98                                // 000000003C10: 02C4C51A
	v_add_f32_e32 v98, v27, v98                                // 000000003C14: 02C4C51B
	v_add_f32_e32 v98, v28, v98                                // 000000003C18: 02C4C51C
	v_add_f32_e32 v98, v29, v98                                // 000000003C1C: 02C4C51D
	v_add_f32_e32 v98, v30, v98                                // 000000003C20: 02C4C51E
	v_add_f32_e32 v98, v31, v98                                // 000000003C24: 02C4C51F
	buffer_load_dwordx4 a[68:71], v113, s[16:19], 0 offen      // 000000003C28: E05C1000 80844471
	s_waitcnt lgkmcnt(0)                                       // 000000003C30: BF8CC07F
	v_sub_f32_e32 v92, v92, v96                                // 000000003C34: 04B8C15C
	v_mul_f32_e32 v92, s46, v92                                // 000000003C38: 0AB8B82E
	v_exp_f32_e32 v92, v92                                     // 000000003C3C: 7EB8415C
	s_nop 0                                                    // 000000003C40: BF800000
	v_mul_f32_e32 v92, v69, v92                                // 000000003C44: 0AB8B945
	v_add_f32_e32 v92, 0x3089705f, v92                         // 000000003C48: 02B8B8FF 3089705F
	v_rcp_f32_e32 v92, v92                                     // 000000003C50: 7EB8455C
	s_nop 0                                                    // 000000003C54: BF800000
	v_mul_f32_e32 v92, 0x43700000, v92                         // 000000003C58: 0AB8B8FF 43700000
	v_mov_b32_e32 v93, v92                                     // 000000003C60: 7EBA035C
	v_pk_mul_f32 v[16:17], v[92:93], v[32:33]                  // 000000003C64: D3B14010 1802415C
	v_pk_mul_f32 v[18:19], v[92:93], v[34:35]                  // 000000003C6C: D3B14012 1802455C
	v_pk_mul_f32 v[20:21], v[92:93], v[36:37]                  // 000000003C74: D3B14014 1802495C
	v_pk_mul_f32 v[22:23], v[92:93], v[38:39]                  // 000000003C7C: D3B14016 18024D5C
	v_pk_mul_f32 v[24:25], v[92:93], v[40:41]                  // 000000003C84: D3B14018 1802515C
	v_pk_mul_f32 v[26:27], v[92:93], v[42:43]                  // 000000003C8C: D3B1401A 1802555C
	v_pk_mul_f32 v[28:29], v[92:93], v[44:45]                  // 000000003C94: D3B1401C 1802595C
	v_pk_mul_f32 v[30:31], v[92:93], v[46:47]                  // 000000003C9C: D3B1401E 18025D5C
	v_cvt_pk_fp8_f32 v16, v16, v17                             // 000000003CA4: D2A20010 00022310
	v_cvt_pk_fp8_f32 v16, v18, v19 op_sel:[0,0,1]              // 000000003CAC: D2A24010 00022712
	v_cvt_pk_fp8_f32 v17, v20, v21                             // 000000003CB4: D2A20011 00022B14
	v_cvt_pk_fp8_f32 v17, v22, v23 op_sel:[0,0,1]              // 000000003CBC: D2A24011 00022F16
	v_cvt_pk_fp8_f32 v18, v24, v25                             // 000000003CC4: D2A20012 00023318
	v_cvt_pk_fp8_f32 v18, v26, v27 op_sel:[0,0,1]              // 000000003CCC: D2A24012 0002371A
	v_cvt_pk_fp8_f32 v19, v28, v29                             // 000000003CD4: D2A20013 00023B1C
	v_cvt_pk_fp8_f32 v19, v30, v31 op_sel:[0,0,1]              // 000000003CDC: D2A24013 00023F1E
	ds_write_b32 v130, v16 offset:2560                         // 000000003CE4: D81A0A00 00001082
	ds_write_b32 v130, v17 offset:3584                         // 000000003CEC: D81A0E00 00001182
	ds_write_b32 v130, v18 offset:4608                         // 000000003CF4: D81A1200 00001282
	ds_write_b32 v130, v19 offset:5632                         // 000000003CFC: D81A1600 00001382
	v_rcp_f32_e32 v70, v92                                     // 000000003D04: 7E8C455C
	s_nop 0                                                    // 000000003D08: BF800000
	v_mov_b32_e32 v71, v70                                     // 000000003D0C: 7E8E0346
	buffer_load_dwordx4 a[72:75], v114, s[16:19], 0 offen      // 000000003D10: E05C1000 80844872
	v_pk_add_f32 v[56:57], v[56:57], v[48:49]                  // 000000003D18: D3B24038 18026138
	v_pk_add_f32 v[58:59], v[58:59], v[50:51]                  // 000000003D20: D3B2403A 1802653A
	v_pk_add_f32 v[60:61], v[60:61], v[52:53]                  // 000000003D28: D3B2403C 1802693C
	v_pk_add_f32 v[62:63], v[62:63], v[54:55]                  // 000000003D30: D3B2403E 18026D3E
	s_waitcnt lgkmcnt(0)                                       // 000000003D38: BF8CC07F
	s_barrier                                                  // 000000003D3C: BF8A0000
	ds_read_b128 v[16:19], v131 offset:2560                    // 000000003D40: D9FE0A00 10000083
	ds_read_b128 v[20:23], v131 offset:3584                    // 000000003D48: D9FE0E00 14000083
	ds_read_b128 v[24:27], v131 offset:4608                    // 000000003D50: D9FE1200 18000083
	ds_read_b128 v[28:31], v131 offset:5632                    // 000000003D58: D9FE1600 1C000083
	buffer_load_dwordx4 a[76:79], v115, s[16:19], 0 offen      // 000000003D60: E05C1000 80844C73
	s_waitcnt vmcnt(14)                                        // 000000003D68: BF8C0F7E
	s_waitcnt lgkmcnt(3)                                       // 000000003D6C: BF8CC37F
	v_mfma_f32_16x16x32_fp8_fp8 v[48:51], a[96:97], v[16:17], 0// 000000003D70: D3F30030 0A022160
	v_mfma_f32_16x16x32_fp8_fp8 v[52:55], a[112:113], v[16:17], 0// 000000003D78: D3F30034 0A022170
	v_mfma_f32_16x16x32_fp8_fp8 v[48:51], a[98:99], v[18:19], v[48:51]// 000000003D80: D3F30030 0CC22562
	buffer_load_dwordx4 a[80:83], v112, s[16:19], 0 offen offset:1024// 000000003D88: E05C1400 80845070
	v_mfma_f32_16x16x32_fp8_fp8 v[52:55], a[114:115], v[18:19], v[52:55]// 000000003D90: D3F30034 0CD22572
	s_waitcnt lgkmcnt(2)                                       // 000000003D98: BF8CC27F
	v_mfma_f32_16x16x32_fp8_fp8 v[48:51], a[100:101], v[20:21], v[48:51]// 000000003D9C: D3F30030 0CC22964
	v_mfma_f32_16x16x32_fp8_fp8 v[52:55], a[116:117], v[20:21], v[52:55]// 000000003DA4: D3F30034 0CD22974
	v_mfma_f32_16x16x32_fp8_fp8 v[48:51], a[102:103], v[22:23], v[48:51]// 000000003DAC: D3F30030 0CC22D66
	buffer_load_dwordx4 a[84:87], v113, s[16:19], 0 offen offset:1024// 000000003DB4: E05C1400 80845471
	v_mfma_f32_16x16x32_fp8_fp8 v[52:55], a[118:119], v[22:23], v[52:55]// 000000003DBC: D3F30034 0CD22D76
	s_waitcnt lgkmcnt(1)                                       // 000000003DC4: BF8CC17F
	v_mfma_f32_16x16x32_fp8_fp8 v[48:51], a[104:105], v[24:25], v[48:51]// 000000003DC8: D3F30030 0CC23168
	v_mfma_f32_16x16x32_fp8_fp8 v[52:55], a[120:121], v[24:25], v[52:55]// 000000003DD0: D3F30034 0CD23178
	v_mfma_f32_16x16x32_fp8_fp8 v[48:51], a[106:107], v[26:27], v[48:51]// 000000003DD8: D3F30030 0CC2356A
	buffer_load_dwordx4 a[88:91], v114, s[16:19], 0 offen offset:1024// 000000003DE0: E05C1400 80845872
	v_mfma_f32_16x16x32_fp8_fp8 v[52:55], a[122:123], v[26:27], v[52:55]// 000000003DE8: D3F30034 0CD2357A
	s_waitcnt lgkmcnt(0)                                       // 000000003DF0: BF8CC07F
	v_mfma_f32_16x16x32_fp8_fp8 v[48:51], a[108:109], v[28:29], v[48:51]// 000000003DF4: D3F30030 0CC2396C
	v_mfma_f32_16x16x32_fp8_fp8 v[52:55], a[124:125], v[28:29], v[52:55]// 000000003DFC: D3F30034 0CD2397C
	v_mfma_f32_16x16x32_fp8_fp8 v[48:51], a[110:111], v[30:31], v[48:51]// 000000003E04: D3F30030 0CC23D6E
	buffer_load_dwordx4 a[92:95], v115, s[16:19], 0 offen offset:1024// 000000003E0C: E05C1400 80845C73
	v_mfma_f32_16x16x32_fp8_fp8 v[52:55], a[126:127], v[30:31], v[52:55]// 000000003E14: D3F30034 0CD23D7E
	s_addk_i32 s64, 0x100                                      // 000000003E1C: B7400100
	s_branch label_029B                                        // 000000003E20: BF82FC92

0000000000003e24 <label_0609>:
	s_cmp_lt_i32 s64, s63                                      // 000000003E24: BF043F40
	s_cbranch_scc0 label_0977                                  // 000000003E28: BF84036C
	s_waitcnt vmcnt(10)                                        // 000000003E2C: BF8C0F7A
	s_lshl_b32 s68, s76, 2                                     // 000000003E30: 8E44824C
	s_cmp_lt_u32 s76, s77                                      // 000000003E34: BF0A4D4C
	s_cselect_b32 s68, s68, 0                                  // 000000003E38: 85448044
	s_addk_i32 s76, 0x1                                        // 000000003E3C: B74C0001
	s_load_dword s59, s[42:43], s68                            // 000000003E40: C0000ED5 00000044
	s_waitcnt lgkmcnt(0)                                       // 000000003E48: BF8CC07F
	s_mul_i32 s69, s59, s50                                    // 000000003E4C: 9245323B
	s_mul_i32 s71, s59, s66                                    // 000000003E50: 9247423B
	s_mul_i32 s54, s78, s51                                    // 000000003E54: 9236334E
	s_add_u32 s69, s69, s54                                    // 000000003E58: 80453645
	s_mov_b32 s70, s69                                         // 000000003E5C: BEC60045
	s_mul_i32 s54, s78, 4                                      // 000000003E60: 9236844E
	s_add_u32 s71, s71, s54                                    // 000000003E64: 80473647
	s_add_u32 s12, s86, s69                                    // 000000003E68: 800C4556
	s_addc_u32 s13, s87, 0                                     // 000000003E6C: 820D8057
	s_add_u32 s16, s88, s70                                    // 000000003E70: 80104658
	s_addc_u32 s17, s89, 0                                     // 000000003E74: 82118059
	s_add_u32 s20, s90, s71                                    // 000000003E78: 8014475A
	s_addc_u32 s21, s91, 0                                     // 000000003E7C: 8215805B
	s_add_u32 s24, s92, s71                                    // 000000003E80: 8018475C
	s_addc_u32 s25, s93, 0                                     // 000000003E84: 8219805D
	v_mfma_f32_16x16x32_fp8_fp8 v[16:19], a[0:1], v[8:9], 0    // 000000003E88: D3F30010 0A021100
	v_mfma_f32_16x16x32_fp8_fp8 v[16:19], a[2:3], v[10:11], v[16:19]// 000000003E90: D3F30010 0C421502
	v_mfma_f32_16x16x32_fp8_fp8 v[16:19], a[4:5], v[12:13], v[16:19]// 000000003E98: D3F30010 0C421904
	buffer_load_dwordx4 a[32:35], v110, s[12:15], 0 offen      // 000000003EA0: E05C1000 8083206E
	v_mfma_f32_16x16x32_fp8_fp8 v[16:19], a[6:7], v[14:15], v[16:19]// 000000003EA8: D3F30010 0C421D06
	v_mfma_f32_16x16x32_fp8_fp8 v[20:23], a[8:9], v[8:9], 0    // 000000003EB0: D3F30014 0A021108
	v_mfma_f32_16x16x32_fp8_fp8 v[20:23], a[10:11], v[10:11], v[20:23]// 000000003EB8: D3F30014 0C52150A
	v_mfma_f32_16x16x32_fp8_fp8 v[20:23], a[12:13], v[12:13], v[20:23]// 000000003EC0: D3F30014 0C52190C
	buffer_load_dwordx4 a[36:39], v111, s[12:15], 0 offen      // 000000003EC8: E05C1000 8083246F
	v_mfma_f32_16x16x32_fp8_fp8 v[20:23], a[14:15], v[14:15], v[20:23]// 000000003ED0: D3F30014 0C521D0E
	v_mfma_f32_16x16x32_fp8_fp8 v[24:27], a[16:17], v[8:9], 0  // 000000003ED8: D3F30018 0A021110
	v_mfma_f32_16x16x32_fp8_fp8 v[24:27], a[18:19], v[10:11], v[24:27]// 000000003EE0: D3F30018 0C621512
	v_mfma_f32_16x16x32_fp8_fp8 v[24:27], a[20:21], v[12:13], v[24:27]// 000000003EE8: D3F30018 0C621914
	buffer_load_dwordx4 a[40:43], v110, s[12:15], 0 offen offset:1024// 000000003EF0: E05C1400 8083286E
	v_mfma_f32_16x16x32_fp8_fp8 v[24:27], a[22:23], v[14:15], v[24:27]// 000000003EF8: D3F30018 0C621D16
	v_mfma_f32_16x16x32_fp8_fp8 v[28:31], a[24:25], v[8:9], 0  // 000000003F00: D3F3001C 0A021118
	v_mfma_f32_16x16x32_fp8_fp8 v[28:31], a[26:27], v[10:11], v[28:31]// 000000003F08: D3F3001C 0C72151A
	v_mfma_f32_16x16x32_fp8_fp8 v[28:31], a[28:29], v[12:13], v[28:31]// 000000003F10: D3F3001C 0C72191C
	buffer_load_dwordx4 a[44:47], v111, s[12:15], 0 offen offset:1024// 000000003F18: E05C1400 80832C6F
	v_mfma_f32_16x16x32_fp8_fp8 v[28:31], a[30:31], v[14:15], v[28:31]// 000000003F20: D3F3001C 0C721D1E
	s_waitcnt vmcnt(12)                                        // 000000003F28: BF8C0F7C
	v_pk_mul_f32 v[16:17], v[64:65], v[16:17]                  // 000000003F2C: D3B14010 18022140
	v_pk_mul_f32 v[18:19], v[64:65], v[18:19]                  // 000000003F34: D3B14012 18022540
	v_mul_f32_dpp v16, v66, v16 row_newbcast:0 row_mask:0xf bank_mask:0xf// 000000003F3C: 0A2020FA FF015042
	v_mul_f32_dpp v17, v66, v17 row_newbcast:1 row_mask:0xf bank_mask:0xf// 000000003F44: 0A2222FA FF015142
	v_mul_f32_dpp v18, v66, v18 row_newbcast:2 row_mask:0xf bank_mask:0xf// 000000003F4C: 0A2424FA FF015242
	v_mul_f32_dpp v19, v66, v19 row_newbcast:3 row_mask:0xf bank_mask:0xf// 000000003F54: 0A2626FA FF015342
	v_pk_mul_f32 v[20:21], v[64:65], v[20:21]                  // 000000003F5C: D3B14014 18022940
	v_pk_mul_f32 v[22:23], v[64:65], v[22:23]                  // 000000003F64: D3B14016 18022D40
	v_mul_f32_dpp v20, v66, v20 row_newbcast:4 row_mask:0xf bank_mask:0xf// 000000003F6C: 0A2828FA FF015442
	v_mul_f32_dpp v21, v66, v21 row_newbcast:5 row_mask:0xf bank_mask:0xf// 000000003F74: 0A2A2AFA FF015542
	v_mul_f32_dpp v22, v66, v22 row_newbcast:6 row_mask:0xf bank_mask:0xf// 000000003F7C: 0A2C2CFA FF015642
	v_mul_f32_dpp v23, v66, v23 row_newbcast:7 row_mask:0xf bank_mask:0xf// 000000003F84: 0A2E2EFA FF015742
	v_pk_mul_f32 v[24:25], v[64:65], v[24:25]                  // 000000003F8C: D3B14018 18023140
	v_pk_mul_f32 v[26:27], v[64:65], v[26:27]                  // 000000003F94: D3B1401A 18023540
	v_mul_f32_dpp v24, v66, v24 row_newbcast:8 row_mask:0xf bank_mask:0xf// 000000003F9C: 0A3030FA FF015842
	v_mul_f32_dpp v25, v66, v25 row_newbcast:9 row_mask:0xf bank_mask:0xf// 000000003FA4: 0A3232FA FF015942
	v_mul_f32_dpp v26, v66, v26 row_newbcast:10 row_mask:0xf bank_mask:0xf// 000000003FAC: 0A3434FA FF015A42
	v_mul_f32_dpp v27, v66, v27 row_newbcast:11 row_mask:0xf bank_mask:0xf// 000000003FB4: 0A3636FA FF015B42
	v_pk_mul_f32 v[28:29], v[64:65], v[28:29]                  // 000000003FBC: D3B1401C 18023940
	v_pk_mul_f32 v[30:31], v[64:65], v[30:31]                  // 000000003FC4: D3B1401E 18023D40
	v_mul_f32_dpp v28, v66, v28 row_newbcast:12 row_mask:0xf bank_mask:0xf// 000000003FCC: 0A3838FA FF015C42
	v_mul_f32_dpp v29, v66, v29 row_newbcast:13 row_mask:0xf bank_mask:0xf// 000000003FD4: 0A3A3AFA FF015D42
	v_mul_f32_dpp v30, v66, v30 row_newbcast:14 row_mask:0xf bank_mask:0xf// 000000003FDC: 0A3C3CFA FF015E42
	v_mul_f32_dpp v31, v66, v31 row_newbcast:15 row_mask:0xf bank_mask:0xf// 000000003FE4: 0A3E3EFA FF015F42
	buffer_load_dwordx4 a[48:51], v110, s[12:15], 0 offen offset:2048// 000000003FEC: E05C1800 8083306E
	v_mov_b32_e32 v92, v16                                     // 000000003FF4: 7EB80310
	v_max3_f32 v92, v16, v17, v92                              // 000000003FF8: D1D3005C 05722310
	v_max3_f32 v92, v18, v19, v92                              // 000000004000: D1D3005C 05722712
	v_max3_f32 v92, v20, v21, v92                              // 000000004008: D1D3005C 05722B14
	v_max3_f32 v92, v22, v23, v92                              // 000000004010: D1D3005C 05722F16
	v_max3_f32 v92, v24, v25, v92                              // 000000004018: D1D3005C 05723318
	v_max3_f32 v92, v26, v27, v92                              // 000000004020: D1D3005C 0572371A
	v_max3_f32 v92, v28, v29, v92                              // 000000004028: D1D3005C 05723B1C
	v_max3_f32 v92, v30, v31, v92                              // 000000004030: D1D3005C 05723F1E
	ds_write_b32 v128, v92                                     // 000000004038: D81A0000 00005C80
	v_pk_mul_f32 v[56:57], v[94:95], v[56:57]                  // 000000004040: D3B14038 1802715E
	v_pk_mul_f32 v[58:59], v[94:95], v[58:59]                  // 000000004048: D3B1403A 1802755E
	v_pk_mul_f32 v[60:61], v[94:95], v[60:61]                  // 000000004050: D3B1403C 1802795E
	v_pk_mul_f32 v[62:63], v[94:95], v[62:63]                  // 000000004058: D3B1403E 18027D5E
	buffer_load_dwordx4 a[52:55], v111, s[12:15], 0 offen offset:2048// 000000004060: E05C1800 8083346F
	s_waitcnt lgkmcnt(0)                                       // 000000004068: BF8CC07F
	s_barrier                                                  // 00000000406C: BF8A0000
	v_pk_mul_f32 v[48:49], v[70:71], v[48:49]                  // 000000004070: D3B14030 18026146
	v_pk_mul_f32 v[50:51], v[70:71], v[50:51]                  // 000000004078: D3B14032 18026546
	v_pk_mul_f32 v[52:53], v[70:71], v[52:53]                  // 000000004080: D3B14034 18026946
	v_pk_mul_f32 v[54:55], v[70:71], v[54:55]                  // 000000004088: D3B14036 18026D46
	buffer_load_dwordx4 a[56:59], v110, s[12:15], 0 offen offset:3072// 000000004090: E05C1C00 8083386E
	ds_read_b32 v76, v129                                      // 000000004098: D86C0000 4C000081
	ds_read_b32 v77, v129 offset:64                            // 0000000040A0: D86C0040 4D000081
	ds_read_b32 v78, v129 offset:128                           // 0000000040A8: D86C0080 4E000081
	ds_read_b32 v79, v129 offset:192                           // 0000000040B0: D86C00C0 4F000081
	ds_read_b32 v80, v129 offset:256                           // 0000000040B8: D86C0100 50000081
	ds_read_b32 v81, v129 offset:320                           // 0000000040C0: D86C0140 51000081
	ds_read_b32 v82, v129 offset:384                           // 0000000040C8: D86C0180 52000081
	ds_read_b32 v83, v129 offset:448                           // 0000000040D0: D86C01C0 53000081
	ds_read_b32 v84, v129 offset:512                           // 0000000040D8: D86C0200 54000081
	ds_read_b32 v85, v129 offset:576                           // 0000000040E0: D86C0240 55000081
	ds_read_b32 v86, v129 offset:640                           // 0000000040E8: D86C0280 56000081
	ds_read_b32 v87, v129 offset:704                           // 0000000040F0: D86C02C0 57000081
	ds_read_b32 v88, v129 offset:768                           // 0000000040F8: D86C0300 58000081
	ds_read_b32 v89, v129 offset:832                           // 000000004100: D86C0340 59000081
	ds_read_b32 v90, v129 offset:896                           // 000000004108: D86C0380 5A000081
	ds_read_b32 v91, v129 offset:960                           // 000000004110: D86C03C0 5B000081
	buffer_load_dwordx4 a[60:63], v111, s[12:15], 0 offen offset:3072// 000000004118: E05C1C00 80833C6F
	s_waitcnt lgkmcnt(0)                                       // 000000004120: BF8CC07F
	v_max3_f32 v92, v76, v77, v92                              // 000000004124: D1D3005C 05729B4C
	v_max3_f32 v92, v78, v79, v92                              // 00000000412C: D1D3005C 05729F4E
	v_max3_f32 v92, v80, v81, v92                              // 000000004134: D1D3005C 0572A350
	v_max3_f32 v92, v82, v83, v92                              // 00000000413C: D1D3005C 0572A752
	v_max3_f32 v92, v84, v85, v92                              // 000000004144: D1D3005C 0572AB54
	v_max3_f32 v92, v86, v87, v92                              // 00000000414C: D1D3005C 0572AF56
	v_max3_f32 v92, v88, v89, v92                              // 000000004154: D1D3005C 0572B358
	v_max3_f32 v92, v90, v91, v92                              // 00000000415C: D1D3005C 0572B75A
	v_max_f32_e32 v97, v92, v96                                // 000000004164: 16C2C15C
	v_mul_f32_e64 v72, -s46, v97                               // 000000004168: D1050048 2002C22E
	v_mov_b32_e32 v73, v72                                     // 000000004170: 7E920348
	v_pk_fma_f32 v[16:17], v[16:17], s[46:47], v[72:73]        // 000000004174: D3B04010 1D205D10
	v_pk_fma_f32 v[18:19], v[18:19], s[46:47], v[72:73]        // 00000000417C: D3B04012 1D205D12
	v_exp_f32_e32 v16, v16                                     // 000000004184: 7E204110
	v_exp_f32_e32 v17, v17                                     // 000000004188: 7E224111
	v_exp_f32_e32 v18, v18                                     // 00000000418C: 7E244112
	v_exp_f32_e32 v19, v19                                     // 000000004190: 7E264113
	v_pk_fma_f32 v[20:21], v[20:21], s[46:47], v[72:73]        // 000000004194: D3B04014 1D205D14
	v_pk_fma_f32 v[22:23], v[22:23], s[46:47], v[72:73]        // 00000000419C: D3B04016 1D205D16
	v_exp_f32_e32 v20, v20                                     // 0000000041A4: 7E284114
	v_exp_f32_e32 v21, v21                                     // 0000000041A8: 7E2A4115
	v_exp_f32_e32 v22, v22                                     // 0000000041AC: 7E2C4116
	v_exp_f32_e32 v23, v23                                     // 0000000041B0: 7E2E4117
	v_pk_fma_f32 v[24:25], v[24:25], s[46:47], v[72:73]        // 0000000041B4: D3B04018 1D205D18
	v_pk_fma_f32 v[26:27], v[26:27], s[46:47], v[72:73]        // 0000000041BC: D3B0401A 1D205D1A
	v_exp_f32_e32 v24, v24                                     // 0000000041C4: 7E304118
	v_exp_f32_e32 v25, v25                                     // 0000000041C8: 7E324119
	v_exp_f32_e32 v26, v26                                     // 0000000041CC: 7E34411A
	v_exp_f32_e32 v27, v27                                     // 0000000041D0: 7E36411B
	v_pk_fma_f32 v[28:29], v[28:29], s[46:47], v[72:73]        // 0000000041D4: D3B0401C 1D205D1C
	v_pk_fma_f32 v[30:31], v[30:31], s[46:47], v[72:73]        // 0000000041DC: D3B0401E 1D205D1E
	v_exp_f32_e32 v28, v28                                     // 0000000041E4: 7E38411C
	v_exp_f32_e32 v29, v29                                     // 0000000041E8: 7E3A411D
	v_exp_f32_e32 v30, v30                                     // 0000000041EC: 7E3C411E
	v_exp_f32_e32 v31, v31                                     // 0000000041F0: 7E3E411F
	v_mul_f32_dpp v32, v68, v16 row_newbcast:0 row_mask:0xf bank_mask:0xf// 0000000041F4: 0A4020FA FF015044
	v_mul_f32_dpp v33, v68, v17 row_newbcast:1 row_mask:0xf bank_mask:0xf// 0000000041FC: 0A4222FA FF015144
	v_mul_f32_dpp v34, v68, v18 row_newbcast:2 row_mask:0xf bank_mask:0xf// 000000004204: 0A4424FA FF015244
	v_mul_f32_dpp v35, v68, v19 row_newbcast:3 row_mask:0xf bank_mask:0xf// 00000000420C: 0A4626FA FF015344
	v_mul_f32_dpp v36, v68, v20 row_newbcast:4 row_mask:0xf bank_mask:0xf// 000000004214: 0A4828FA FF015444
	v_mul_f32_dpp v37, v68, v21 row_newbcast:5 row_mask:0xf bank_mask:0xf// 00000000421C: 0A4A2AFA FF015544
	v_mul_f32_dpp v38, v68, v22 row_newbcast:6 row_mask:0xf bank_mask:0xf// 000000004224: 0A4C2CFA FF015644
	v_mul_f32_dpp v39, v68, v23 row_newbcast:7 row_mask:0xf bank_mask:0xf// 00000000422C: 0A4E2EFA FF015744
	v_mul_f32_dpp v40, v68, v24 row_newbcast:8 row_mask:0xf bank_mask:0xf// 000000004234: 0A5030FA FF015844
	v_mul_f32_dpp v41, v68, v25 row_newbcast:9 row_mask:0xf bank_mask:0xf// 00000000423C: 0A5232FA FF015944
	v_mul_f32_dpp v42, v68, v26 row_newbcast:10 row_mask:0xf bank_mask:0xf// 000000004244: 0A5434FA FF015A44
	v_mul_f32_dpp v43, v68, v27 row_newbcast:11 row_mask:0xf bank_mask:0xf// 00000000424C: 0A5636FA FF015B44
	v_mul_f32_dpp v44, v68, v28 row_newbcast:12 row_mask:0xf bank_mask:0xf// 000000004254: 0A5838FA FF015C44
	v_mul_f32_dpp v45, v68, v29 row_newbcast:13 row_mask:0xf bank_mask:0xf// 00000000425C: 0A5A3AFA FF015D44
	v_mul_f32_dpp v46, v68, v30 row_newbcast:14 row_mask:0xf bank_mask:0xf// 000000004264: 0A5C3CFA FF015E44
	v_mul_f32_dpp v47, v68, v31 row_newbcast:15 row_mask:0xf bank_mask:0xf// 00000000426C: 0A5E3EFA FF015F44
	buffer_load_dword v67, v116, s[20:23], 0 offen             // 000000004274: E0501000 80054374
	v_sub_f32_e32 v94, v96, v97                                // 00000000427C: 04BCC360
	v_cmp_eq_u32_e64 s[98:99], v107, v96                       // 000000004280: D0CA0062 0002C16B
	s_nop 0                                                    // 000000004288: BF800000
	v_cndmask_b32_e64 v94, v94, 0, s[98:99]                    // 00000000428C: D100005E 0189015E
	v_mov_b32_e32 v96, v97                                     // 000000004294: 7EC00361
	v_mul_f32_e32 v94, s46, v94                                // 000000004298: 0ABCBC2E
	v_exp_f32_e32 v94, v94                                     // 00000000429C: 7EBC415E
	s_nop 0                                                    // 0000000042A0: BF800000
	v_mov_b32_e32 v95, v94                                     // 0000000042A4: 7EBE035E
	buffer_load_dword v69, v117, s[24:27], 0 offen             // 0000000042A8: E0501000 80064575
	s_waitcnt lgkmcnt(0)                                       // 0000000042B0: BF8CC07F
	s_barrier                                                  // 0000000042B4: BF8A0000
	v_mul_f32_e32 v98, v94, v98                                // 0000000042B8: 0AC4C55E
	v_add_f32_e32 v98, v16, v98                                // 0000000042BC: 02C4C510
	v_add_f32_e32 v98, v17, v98                                // 0000000042C0: 02C4C511
	v_add_f32_e32 v98, v18, v98                                // 0000000042C4: 02C4C512
	v_add_f32_e32 v98, v19, v98                                // 0000000042C8: 02C4C513
	v_add_f32_e32 v98, v20, v98                                // 0000000042CC: 02C4C514
	v_add_f32_e32 v98, v21, v98                                // 0000000042D0: 02C4C515
	v_add_f32_e32 v98, v22, v98                                // 0000000042D4: 02C4C516
	v_add_f32_e32 v98, v23, v98                                // 0000000042D8: 02C4C517
	v_add_f32_e32 v98, v24, v98                                // 0000000042DC: 02C4C518
	v_add_f32_e32 v98, v25, v98                                // 0000000042E0: 02C4C519
	v_add_f32_e32 v98, v26, v98                                // 0000000042E4: 02C4C51A
	v_add_f32_e32 v98, v27, v98                                // 0000000042E8: 02C4C51B
	v_add_f32_e32 v98, v28, v98                                // 0000000042EC: 02C4C51C
	v_add_f32_e32 v98, v29, v98                                // 0000000042F0: 02C4C51D
	v_add_f32_e32 v98, v30, v98                                // 0000000042F4: 02C4C51E
	v_add_f32_e32 v98, v31, v98                                // 0000000042F8: 02C4C51F
	buffer_load_dwordx4 a[100:103], v113, s[16:19], 0 offen    // 0000000042FC: E05C1000 80846471
	buffer_load_dwordx4 a[96:99], v112, s[16:19], 0 offen      // 000000004304: E05C1000 80846070
	s_waitcnt lgkmcnt(0)                                       // 00000000430C: BF8CC07F
	v_sub_f32_e32 v92, v92, v96                                // 000000004310: 04B8C15C
	v_mul_f32_e32 v92, s46, v92                                // 000000004314: 0AB8B82E
	v_exp_f32_e32 v92, v92                                     // 000000004318: 7EB8415C
	s_nop 0                                                    // 00000000431C: BF800000
	v_mul_f32_e32 v92, v68, v92                                // 000000004320: 0AB8B944
	v_add_f32_e32 v92, 0x3089705f, v92                         // 000000004324: 02B8B8FF 3089705F
	v_rcp_f32_e32 v92, v92                                     // 00000000432C: 7EB8455C
	s_nop 0                                                    // 000000004330: BF800000
	v_mul_f32_e32 v92, 0x43700000, v92                         // 000000004334: 0AB8B8FF 43700000
	v_mov_b32_e32 v93, v92                                     // 00000000433C: 7EBA035C
	v_pk_mul_f32 v[16:17], v[92:93], v[32:33]                  // 000000004340: D3B14010 1802415C
	v_pk_mul_f32 v[18:19], v[92:93], v[34:35]                  // 000000004348: D3B14012 1802455C
	v_pk_mul_f32 v[20:21], v[92:93], v[36:37]                  // 000000004350: D3B14014 1802495C
	v_pk_mul_f32 v[22:23], v[92:93], v[38:39]                  // 000000004358: D3B14016 18024D5C
	v_pk_mul_f32 v[24:25], v[92:93], v[40:41]                  // 000000004360: D3B14018 1802515C
	v_pk_mul_f32 v[26:27], v[92:93], v[42:43]                  // 000000004368: D3B1401A 1802555C
	v_pk_mul_f32 v[28:29], v[92:93], v[44:45]                  // 000000004370: D3B1401C 1802595C
	v_pk_mul_f32 v[30:31], v[92:93], v[46:47]                  // 000000004378: D3B1401E 18025D5C
	v_cvt_pk_fp8_f32 v16, v16, v17                             // 000000004380: D2A20010 00022310
	v_cvt_pk_fp8_f32 v16, v18, v19 op_sel:[0,0,1]              // 000000004388: D2A24010 00022712
	v_cvt_pk_fp8_f32 v17, v20, v21                             // 000000004390: D2A20011 00022B14
	v_cvt_pk_fp8_f32 v17, v22, v23 op_sel:[0,0,1]              // 000000004398: D2A24011 00022F16
	v_cvt_pk_fp8_f32 v18, v24, v25                             // 0000000043A0: D2A20012 00023318
	v_cvt_pk_fp8_f32 v18, v26, v27 op_sel:[0,0,1]              // 0000000043A8: D2A24012 0002371A
	v_cvt_pk_fp8_f32 v19, v28, v29                             // 0000000043B0: D2A20013 00023B1C
	v_cvt_pk_fp8_f32 v19, v30, v31 op_sel:[0,0,1]              // 0000000043B8: D2A24013 00023F1E
	ds_write_b32 v130, v16 offset:2560                         // 0000000043C0: D81A0A00 00001082
	ds_write_b32 v130, v17 offset:3584                         // 0000000043C8: D81A0E00 00001182
	ds_write_b32 v130, v18 offset:4608                         // 0000000043D0: D81A1200 00001282
	ds_write_b32 v130, v19 offset:5632                         // 0000000043D8: D81A1600 00001382
	v_rcp_f32_e32 v70, v92                                     // 0000000043E0: 7E8C455C
	s_nop 0                                                    // 0000000043E4: BF800000
	v_mov_b32_e32 v71, v70                                     // 0000000043E8: 7E8E0346
	buffer_load_dwordx4 a[104:107], v114, s[16:19], 0 offen    // 0000000043EC: E05C1000 80846872
	v_pk_add_f32 v[56:57], v[56:57], v[48:49]                  // 0000000043F4: D3B24038 18026138
	v_pk_add_f32 v[58:59], v[58:59], v[50:51]                  // 0000000043FC: D3B2403A 1802653A
	v_pk_add_f32 v[60:61], v[60:61], v[52:53]                  // 000000004404: D3B2403C 1802693C
	v_pk_add_f32 v[62:63], v[62:63], v[54:55]                  // 00000000440C: D3B2403E 18026D3E
	s_waitcnt lgkmcnt(0)                                       // 000000004414: BF8CC07F
	s_barrier                                                  // 000000004418: BF8A0000
	ds_read_b128 v[16:19], v131 offset:2560                    // 00000000441C: D9FE0A00 10000083
	ds_read_b128 v[20:23], v131 offset:3584                    // 000000004424: D9FE0E00 14000083
	ds_read_b128 v[24:27], v131 offset:4608                    // 00000000442C: D9FE1200 18000083
	ds_read_b128 v[28:31], v131 offset:5632                    // 000000004434: D9FE1600 1C000083
	buffer_load_dwordx4 a[108:111], v115, s[16:19], 0 offen    // 00000000443C: E05C1000 80846C73
	s_waitcnt vmcnt(14)                                        // 000000004444: BF8C0F7E
	s_waitcnt lgkmcnt(3)                                       // 000000004448: BF8CC37F
	v_mfma_f32_16x16x32_fp8_fp8 v[48:51], a[64:65], v[16:17], 0// 00000000444C: D3F30030 0A022140
	v_mfma_f32_16x16x32_fp8_fp8 v[52:55], a[80:81], v[16:17], 0// 000000004454: D3F30034 0A022150
	v_mfma_f32_16x16x32_fp8_fp8 v[48:51], a[66:67], v[18:19], v[48:51]// 00000000445C: D3F30030 0CC22542
	buffer_load_dwordx4 a[112:115], v112, s[16:19], 0 offen offset:1024// 000000004464: E05C1400 80847070
	v_mfma_f32_16x16x32_fp8_fp8 v[52:55], a[82:83], v[18:19], v[52:55]// 00000000446C: D3F30034 0CD22552
	s_waitcnt lgkmcnt(2)                                       // 000000004474: BF8CC27F
	v_mfma_f32_16x16x32_fp8_fp8 v[48:51], a[68:69], v[20:21], v[48:51]// 000000004478: D3F30030 0CC22944
	v_mfma_f32_16x16x32_fp8_fp8 v[52:55], a[84:85], v[20:21], v[52:55]// 000000004480: D3F30034 0CD22954
	v_mfma_f32_16x16x32_fp8_fp8 v[48:51], a[70:71], v[22:23], v[48:51]// 000000004488: D3F30030 0CC22D46
	buffer_load_dwordx4 a[116:119], v113, s[16:19], 0 offen offset:1024// 000000004490: E05C1400 80847471
	v_mfma_f32_16x16x32_fp8_fp8 v[52:55], a[86:87], v[22:23], v[52:55]// 000000004498: D3F30034 0CD22D56
	s_waitcnt lgkmcnt(1)                                       // 0000000044A0: BF8CC17F
	v_mfma_f32_16x16x32_fp8_fp8 v[48:51], a[72:73], v[24:25], v[48:51]// 0000000044A4: D3F30030 0CC23148
	v_mfma_f32_16x16x32_fp8_fp8 v[52:55], a[88:89], v[24:25], v[52:55]// 0000000044AC: D3F30034 0CD23158
	v_mfma_f32_16x16x32_fp8_fp8 v[48:51], a[74:75], v[26:27], v[48:51]// 0000000044B4: D3F30030 0CC2354A
	buffer_load_dwordx4 a[120:123], v114, s[16:19], 0 offen offset:1024// 0000000044BC: E05C1400 80847872
	v_mfma_f32_16x16x32_fp8_fp8 v[52:55], a[90:91], v[26:27], v[52:55]// 0000000044C4: D3F30034 0CD2355A
	s_waitcnt lgkmcnt(0)                                       // 0000000044CC: BF8CC07F
	v_mfma_f32_16x16x32_fp8_fp8 v[48:51], a[76:77], v[28:29], v[48:51]// 0000000044D0: D3F30030 0CC2394C
	v_mfma_f32_16x16x32_fp8_fp8 v[52:55], a[92:93], v[28:29], v[52:55]// 0000000044D8: D3F30034 0CD2395C
	v_mfma_f32_16x16x32_fp8_fp8 v[48:51], a[78:79], v[30:31], v[48:51]// 0000000044E0: D3F30030 0CC23D4E
	buffer_load_dwordx4 a[124:127], v115, s[16:19], 0 offen offset:1024// 0000000044E8: E05C1400 80847C73
	v_mfma_f32_16x16x32_fp8_fp8 v[52:55], a[94:95], v[30:31], v[52:55]// 0000000044F0: D3F30034 0CD23D5E
	s_addk_i32 s64, 0x100                                      // 0000000044F8: B7400100
	s_branch label_07C0                                        // 0000000044FC: BF820000

0000000000004500 <label_07C0>:
	s_cmp_lt_i32 s64, s63                                      // 000000004500: BF043F40
	s_cbranch_scc0 label_0D37                                  // 000000004504: BF840575
	s_waitcnt vmcnt(10)                                        // 000000004508: BF8C0F7A
	s_lshl_b32 s68, s76, 2                                     // 00000000450C: 8E44824C
	s_cmp_lt_u32 s76, s77                                      // 000000004510: BF0A4D4C
	s_cselect_b32 s68, s68, 0                                  // 000000004514: 85448044
	s_addk_i32 s76, 0x1                                        // 000000004518: B74C0001
	s_load_dword s59, s[42:43], s68                            // 00000000451C: C0000ED5 00000044
	s_waitcnt lgkmcnt(0)                                       // 000000004524: BF8CC07F
	s_mul_i32 s69, s59, s50                                    // 000000004528: 9245323B
	s_mul_i32 s71, s59, s66                                    // 00000000452C: 9247423B
	s_mul_i32 s54, s78, s51                                    // 000000004530: 9236334E
	s_add_u32 s69, s69, s54                                    // 000000004534: 80453645
	s_mov_b32 s70, s69                                         // 000000004538: BEC60045
	s_mul_i32 s54, s78, 4                                      // 00000000453C: 9236844E
	s_add_u32 s71, s71, s54                                    // 000000004540: 80473647
	s_add_u32 s12, s86, s69                                    // 000000004544: 800C4556
	s_addc_u32 s13, s87, 0                                     // 000000004548: 820D8057
	s_add_u32 s16, s88, s70                                    // 00000000454C: 80104658
	s_addc_u32 s17, s89, 0                                     // 000000004550: 82118059
	s_add_u32 s20, s90, s71                                    // 000000004554: 8014475A
	s_addc_u32 s21, s91, 0                                     // 000000004558: 8215805B
	s_add_u32 s24, s92, s71                                    // 00000000455C: 8018475C
	s_addc_u32 s25, s93, 0                                     // 000000004560: 8219805D
	v_mfma_f32_16x16x32_fp8_fp8 v[16:19], a[32:33], v[8:9], 0  // 000000004564: D3F30010 0A021120
	v_mfma_f32_16x16x32_fp8_fp8 v[16:19], a[34:35], v[10:11], v[16:19]// 00000000456C: D3F30010 0C421522
	v_mfma_f32_16x16x32_fp8_fp8 v[16:19], a[36:37], v[12:13], v[16:19]// 000000004574: D3F30010 0C421924
	buffer_load_dwordx4 a[0:3], v110, s[12:15], 0 offen        // 00000000457C: E05C1000 8083006E
	v_mfma_f32_16x16x32_fp8_fp8 v[16:19], a[38:39], v[14:15], v[16:19]// 000000004584: D3F30010 0C421D26
	v_mfma_f32_16x16x32_fp8_fp8 v[20:23], a[40:41], v[8:9], 0  // 00000000458C: D3F30014 0A021128
	v_mfma_f32_16x16x32_fp8_fp8 v[20:23], a[42:43], v[10:11], v[20:23]// 000000004594: D3F30014 0C52152A
	v_mfma_f32_16x16x32_fp8_fp8 v[20:23], a[44:45], v[12:13], v[20:23]// 00000000459C: D3F30014 0C52192C
	buffer_load_dwordx4 a[4:7], v111, s[12:15], 0 offen        // 0000000045A4: E05C1000 8083046F
	v_mfma_f32_16x16x32_fp8_fp8 v[20:23], a[46:47], v[14:15], v[20:23]// 0000000045AC: D3F30014 0C521D2E
	v_mfma_f32_16x16x32_fp8_fp8 v[24:27], a[48:49], v[8:9], 0  // 0000000045B4: D3F30018 0A021130
	v_mfma_f32_16x16x32_fp8_fp8 v[24:27], a[50:51], v[10:11], v[24:27]// 0000000045BC: D3F30018 0C621532
	v_mfma_f32_16x16x32_fp8_fp8 v[24:27], a[52:53], v[12:13], v[24:27]// 0000000045C4: D3F30018 0C621934
	buffer_load_dwordx4 a[8:11], v110, s[12:15], 0 offen offset:1024// 0000000045CC: E05C1400 8083086E
	v_mfma_f32_16x16x32_fp8_fp8 v[24:27], a[54:55], v[14:15], v[24:27]// 0000000045D4: D3F30018 0C621D36
	v_mfma_f32_16x16x32_fp8_fp8 v[28:31], a[56:57], v[8:9], 0  // 0000000045DC: D3F3001C 0A021138
	v_mfma_f32_16x16x32_fp8_fp8 v[28:31], a[58:59], v[10:11], v[28:31]// 0000000045E4: D3F3001C 0C72153A
	v_mfma_f32_16x16x32_fp8_fp8 v[28:31], a[60:61], v[12:13], v[28:31]// 0000000045EC: D3F3001C 0C72193C
	buffer_load_dwordx4 a[12:15], v111, s[12:15], 0 offen offset:1024// 0000000045F4: E05C1400 80830C6F
	v_mfma_f32_16x16x32_fp8_fp8 v[28:31], a[62:63], v[14:15], v[28:31]// 0000000045FC: D3F3001C 0C721D3E
	s_waitcnt vmcnt(12)                                        // 000000004604: BF8C0F7C
	v_pk_mul_f32 v[16:17], v[64:65], v[16:17]                  // 000000004608: D3B14010 18022140
	v_pk_mul_f32 v[18:19], v[64:65], v[18:19]                  // 000000004610: D3B14012 18022540
	v_mul_f32_dpp v16, v67, v16 row_newbcast:0 row_mask:0xf bank_mask:0xf// 000000004618: 0A2020FA FF015043
	v_mul_f32_dpp v17, v67, v17 row_newbcast:1 row_mask:0xf bank_mask:0xf// 000000004620: 0A2222FA FF015143
	v_mul_f32_dpp v18, v67, v18 row_newbcast:2 row_mask:0xf bank_mask:0xf// 000000004628: 0A2424FA FF015243
	v_mul_f32_dpp v19, v67, v19 row_newbcast:3 row_mask:0xf bank_mask:0xf// 000000004630: 0A2626FA FF015343
	v_pk_mul_f32 v[20:21], v[64:65], v[20:21]                  // 000000004638: D3B14014 18022940
	v_pk_mul_f32 v[22:23], v[64:65], v[22:23]                  // 000000004640: D3B14016 18022D40
	v_mul_f32_dpp v20, v67, v20 row_newbcast:4 row_mask:0xf bank_mask:0xf// 000000004648: 0A2828FA FF015443
	v_mul_f32_dpp v21, v67, v21 row_newbcast:5 row_mask:0xf bank_mask:0xf// 000000004650: 0A2A2AFA FF015543
	v_mul_f32_dpp v22, v67, v22 row_newbcast:6 row_mask:0xf bank_mask:0xf// 000000004658: 0A2C2CFA FF015643
	v_mul_f32_dpp v23, v67, v23 row_newbcast:7 row_mask:0xf bank_mask:0xf// 000000004660: 0A2E2EFA FF015743
	v_pk_mul_f32 v[24:25], v[64:65], v[24:25]                  // 000000004668: D3B14018 18023140
	v_pk_mul_f32 v[26:27], v[64:65], v[26:27]                  // 000000004670: D3B1401A 18023540
	v_mul_f32_dpp v24, v67, v24 row_newbcast:8 row_mask:0xf bank_mask:0xf// 000000004678: 0A3030FA FF015843
	v_mul_f32_dpp v25, v67, v25 row_newbcast:9 row_mask:0xf bank_mask:0xf// 000000004680: 0A3232FA FF015943
	v_mul_f32_dpp v26, v67, v26 row_newbcast:10 row_mask:0xf bank_mask:0xf// 000000004688: 0A3434FA FF015A43
	v_mul_f32_dpp v27, v67, v27 row_newbcast:11 row_mask:0xf bank_mask:0xf// 000000004690: 0A3636FA FF015B43
	v_pk_mul_f32 v[28:29], v[64:65], v[28:29]                  // 000000004698: D3B1401C 18023940
	v_pk_mul_f32 v[30:31], v[64:65], v[30:31]                  // 0000000046A0: D3B1401E 18023D40
	v_mul_f32_dpp v28, v67, v28 row_newbcast:12 row_mask:0xf bank_mask:0xf// 0000000046A8: 0A3838FA FF015C43
	v_mul_f32_dpp v29, v67, v29 row_newbcast:13 row_mask:0xf bank_mask:0xf// 0000000046B0: 0A3A3AFA FF015D43
	v_mul_f32_dpp v30, v67, v30 row_newbcast:14 row_mask:0xf bank_mask:0xf// 0000000046B8: 0A3C3CFA FF015E43
	v_mul_f32_dpp v31, v67, v31 row_newbcast:15 row_mask:0xf bank_mask:0xf// 0000000046C0: 0A3E3EFA FF015F43
	buffer_load_dwordx4 a[16:19], v110, s[12:15], 0 offen offset:2048// 0000000046C8: E05C1800 8083106E
	v_mov_b32_e32 v92, v16                                     // 0000000046D0: 7EB80310
	v_max3_f32 v92, v16, v17, v92                              // 0000000046D4: D1D3005C 05722310
	v_max3_f32 v92, v18, v19, v92                              // 0000000046DC: D1D3005C 05722712
	v_max3_f32 v92, v20, v21, v92                              // 0000000046E4: D1D3005C 05722B14
	v_max3_f32 v92, v22, v23, v92                              // 0000000046EC: D1D3005C 05722F16
	v_max3_f32 v92, v24, v25, v92                              // 0000000046F4: D1D3005C 05723318
	v_max3_f32 v92, v26, v27, v92                              // 0000000046FC: D1D3005C 0572371A
	v_max3_f32 v92, v28, v29, v92                              // 000000004704: D1D3005C 05723B1C
	v_max3_f32 v92, v30, v31, v92                              // 00000000470C: D1D3005C 05723F1E
	ds_write_b32 v128, v92                                     // 000000004714: D81A0000 00005C80
	v_pk_mul_f32 v[56:57], v[94:95], v[56:57]                  // 00000000471C: D3B14038 1802715E
	v_pk_mul_f32 v[58:59], v[94:95], v[58:59]                  // 000000004724: D3B1403A 1802755E
	v_pk_mul_f32 v[60:61], v[94:95], v[60:61]                  // 00000000472C: D3B1403C 1802795E
	v_pk_mul_f32 v[62:63], v[94:95], v[62:63]                  // 000000004734: D3B1403E 18027D5E
	buffer_load_dwordx4 a[20:23], v111, s[12:15], 0 offen offset:2048// 00000000473C: E05C1800 8083146F
	s_waitcnt lgkmcnt(0)                                       // 000000004744: BF8CC07F
	s_barrier                                                  // 000000004748: BF8A0000
	v_pk_mul_f32 v[48:49], v[70:71], v[48:49]                  // 00000000474C: D3B14030 18026146
	v_pk_mul_f32 v[50:51], v[70:71], v[50:51]                  // 000000004754: D3B14032 18026546
	v_pk_mul_f32 v[52:53], v[70:71], v[52:53]                  // 00000000475C: D3B14034 18026946
	v_pk_mul_f32 v[54:55], v[70:71], v[54:55]                  // 000000004764: D3B14036 18026D46
	buffer_load_dwordx4 a[24:27], v110, s[12:15], 0 offen offset:3072// 00000000476C: E05C1C00 8083186E
	ds_read_b32 v76, v129                                      // 000000004774: D86C0000 4C000081
	ds_read_b32 v77, v129 offset:64                            // 00000000477C: D86C0040 4D000081
	ds_read_b32 v78, v129 offset:128                           // 000000004784: D86C0080 4E000081
	ds_read_b32 v79, v129 offset:192                           // 00000000478C: D86C00C0 4F000081
	ds_read_b32 v80, v129 offset:256                           // 000000004794: D86C0100 50000081
	ds_read_b32 v81, v129 offset:320                           // 00000000479C: D86C0140 51000081
	ds_read_b32 v82, v129 offset:384                           // 0000000047A4: D86C0180 52000081
	ds_read_b32 v83, v129 offset:448                           // 0000000047AC: D86C01C0 53000081
	ds_read_b32 v84, v129 offset:512                           // 0000000047B4: D86C0200 54000081
	ds_read_b32 v85, v129 offset:576                           // 0000000047BC: D86C0240 55000081
	ds_read_b32 v86, v129 offset:640                           // 0000000047C4: D86C0280 56000081
	ds_read_b32 v87, v129 offset:704                           // 0000000047CC: D86C02C0 57000081
	ds_read_b32 v88, v129 offset:768                           // 0000000047D4: D86C0300 58000081
	ds_read_b32 v89, v129 offset:832                           // 0000000047DC: D86C0340 59000081
	ds_read_b32 v90, v129 offset:896                           // 0000000047E4: D86C0380 5A000081
	ds_read_b32 v91, v129 offset:960                           // 0000000047EC: D86C03C0 5B000081
	buffer_load_dwordx4 a[28:31], v111, s[12:15], 0 offen offset:3072// 0000000047F4: E05C1C00 80831C6F
	s_waitcnt lgkmcnt(0)                                       // 0000000047FC: BF8CC07F
	v_max3_f32 v92, v76, v77, v92                              // 000000004800: D1D3005C 05729B4C
	v_max3_f32 v92, v78, v79, v92                              // 000000004808: D1D3005C 05729F4E
	v_max3_f32 v92, v80, v81, v92                              // 000000004810: D1D3005C 0572A350
	v_max3_f32 v92, v82, v83, v92                              // 000000004818: D1D3005C 0572A752
	v_max3_f32 v92, v84, v85, v92                              // 000000004820: D1D3005C 0572AB54
	v_max3_f32 v92, v86, v87, v92                              // 000000004828: D1D3005C 0572AF56
	v_max3_f32 v92, v88, v89, v92                              // 000000004830: D1D3005C 0572B358
	v_max3_f32 v92, v90, v91, v92                              // 000000004838: D1D3005C 0572B75A
	v_max_f32_e32 v97, v92, v96                                // 000000004840: 16C2C15C
	v_mul_f32_e64 v72, -s46, v97                               // 000000004844: D1050048 2002C22E
	v_mov_b32_e32 v73, v72                                     // 00000000484C: 7E920348
	v_pk_fma_f32 v[16:17], v[16:17], s[46:47], v[72:73]        // 000000004850: D3B04010 1D205D10
	v_pk_fma_f32 v[18:19], v[18:19], s[46:47], v[72:73]        // 000000004858: D3B04012 1D205D12
	v_exp_f32_e32 v16, v16                                     // 000000004860: 7E204110
	v_exp_f32_e32 v17, v17                                     // 000000004864: 7E224111
	v_exp_f32_e32 v18, v18                                     // 000000004868: 7E244112
	v_exp_f32_e32 v19, v19                                     // 00000000486C: 7E264113
	v_pk_fma_f32 v[20:21], v[20:21], s[46:47], v[72:73]        // 000000004870: D3B04014 1D205D14
	v_pk_fma_f32 v[22:23], v[22:23], s[46:47], v[72:73]        // 000000004878: D3B04016 1D205D16
	v_exp_f32_e32 v20, v20                                     // 000000004880: 7E284114
	v_exp_f32_e32 v21, v21                                     // 000000004884: 7E2A4115
	v_exp_f32_e32 v22, v22                                     // 000000004888: 7E2C4116
	v_exp_f32_e32 v23, v23                                     // 00000000488C: 7E2E4117
	v_pk_fma_f32 v[24:25], v[24:25], s[46:47], v[72:73]        // 000000004890: D3B04018 1D205D18
	v_pk_fma_f32 v[26:27], v[26:27], s[46:47], v[72:73]        // 000000004898: D3B0401A 1D205D1A
	v_exp_f32_e32 v24, v24                                     // 0000000048A0: 7E304118
	v_exp_f32_e32 v25, v25                                     // 0000000048A4: 7E324119
	v_exp_f32_e32 v26, v26                                     // 0000000048A8: 7E34411A
	v_exp_f32_e32 v27, v27                                     // 0000000048AC: 7E36411B
	v_pk_fma_f32 v[28:29], v[28:29], s[46:47], v[72:73]        // 0000000048B0: D3B0401C 1D205D1C
	v_pk_fma_f32 v[30:31], v[30:31], s[46:47], v[72:73]        // 0000000048B8: D3B0401E 1D205D1E
	v_exp_f32_e32 v28, v28                                     // 0000000048C0: 7E38411C
	v_exp_f32_e32 v29, v29                                     // 0000000048C4: 7E3A411D
	v_exp_f32_e32 v30, v30                                     // 0000000048C8: 7E3C411E
	v_exp_f32_e32 v31, v31                                     // 0000000048CC: 7E3E411F
	v_mul_f32_dpp v32, v69, v16 row_newbcast:0 row_mask:0xf bank_mask:0xf// 0000000048D0: 0A4020FA FF015045
	v_mul_f32_dpp v33, v69, v17 row_newbcast:1 row_mask:0xf bank_mask:0xf// 0000000048D8: 0A4222FA FF015145
	v_mul_f32_dpp v34, v69, v18 row_newbcast:2 row_mask:0xf bank_mask:0xf// 0000000048E0: 0A4424FA FF015245
	v_mul_f32_dpp v35, v69, v19 row_newbcast:3 row_mask:0xf bank_mask:0xf// 0000000048E8: 0A4626FA FF015345
	v_mul_f32_dpp v36, v69, v20 row_newbcast:4 row_mask:0xf bank_mask:0xf// 0000000048F0: 0A4828FA FF015445
	v_mul_f32_dpp v37, v69, v21 row_newbcast:5 row_mask:0xf bank_mask:0xf// 0000000048F8: 0A4A2AFA FF015545
	v_mul_f32_dpp v38, v69, v22 row_newbcast:6 row_mask:0xf bank_mask:0xf// 000000004900: 0A4C2CFA FF015645
	v_mul_f32_dpp v39, v69, v23 row_newbcast:7 row_mask:0xf bank_mask:0xf// 000000004908: 0A4E2EFA FF015745
	v_mul_f32_dpp v40, v69, v24 row_newbcast:8 row_mask:0xf bank_mask:0xf// 000000004910: 0A5030FA FF015845
	v_mul_f32_dpp v41, v69, v25 row_newbcast:9 row_mask:0xf bank_mask:0xf// 000000004918: 0A5232FA FF015945
	v_mul_f32_dpp v42, v69, v26 row_newbcast:10 row_mask:0xf bank_mask:0xf// 000000004920: 0A5434FA FF015A45
	v_mul_f32_dpp v43, v69, v27 row_newbcast:11 row_mask:0xf bank_mask:0xf// 000000004928: 0A5636FA FF015B45
	v_mul_f32_dpp v44, v69, v28 row_newbcast:12 row_mask:0xf bank_mask:0xf// 000000004930: 0A5838FA FF015C45
	v_mul_f32_dpp v45, v69, v29 row_newbcast:13 row_mask:0xf bank_mask:0xf// 000000004938: 0A5A3AFA FF015D45
	v_mul_f32_dpp v46, v69, v30 row_newbcast:14 row_mask:0xf bank_mask:0xf// 000000004940: 0A5C3CFA FF015E45
	v_mul_f32_dpp v47, v69, v31 row_newbcast:15 row_mask:0xf bank_mask:0xf// 000000004948: 0A5E3EFA FF015F45
	buffer_load_dword v66, v116, s[20:23], 0 offen             // 000000004950: E0501000 80054274
	v_sub_f32_e32 v94, v96, v97                                // 000000004958: 04BCC360
	v_cmp_eq_u32_e64 s[98:99], v107, v96                       // 00000000495C: D0CA0062 0002C16B
	s_nop 0                                                    // 000000004964: BF800000
	v_cndmask_b32_e64 v94, v94, 0, s[98:99]                    // 000000004968: D100005E 0189015E
	v_mov_b32_e32 v96, v97                                     // 000000004970: 7EC00361
	v_mul_f32_e32 v94, s46, v94                                // 000000004974: 0ABCBC2E
	v_exp_f32_e32 v94, v94                                     // 000000004978: 7EBC415E
	s_nop 0                                                    // 00000000497C: BF800000
	v_mov_b32_e32 v95, v94                                     // 000000004980: 7EBE035E
	buffer_load_dword v68, v117, s[24:27], 0 offen             // 000000004984: E0501000 80064475
	s_waitcnt lgkmcnt(0)                                       // 00000000498C: BF8CC07F
	s_barrier                                                  // 000000004990: BF8A0000
	v_mul_f32_e32 v98, v94, v98                                // 000000004994: 0AC4C55E
	v_add_f32_e32 v98, v16, v98                                // 000000004998: 02C4C510
	v_add_f32_e32 v98, v17, v98                                // 00000000499C: 02C4C511
	v_add_f32_e32 v98, v18, v98                                // 0000000049A0: 02C4C512
	v_add_f32_e32 v98, v19, v98                                // 0000000049A4: 02C4C513
	v_add_f32_e32 v98, v20, v98                                // 0000000049A8: 02C4C514
	v_add_f32_e32 v98, v21, v98                                // 0000000049AC: 02C4C515
	v_add_f32_e32 v98, v22, v98                                // 0000000049B0: 02C4C516
	v_add_f32_e32 v98, v23, v98                                // 0000000049B4: 02C4C517
	v_add_f32_e32 v98, v24, v98                                // 0000000049B8: 02C4C518
	v_add_f32_e32 v98, v25, v98                                // 0000000049BC: 02C4C519
	v_add_f32_e32 v98, v26, v98                                // 0000000049C0: 02C4C51A
	v_add_f32_e32 v98, v27, v98                                // 0000000049C4: 02C4C51B
	v_add_f32_e32 v98, v28, v98                                // 0000000049C8: 02C4C51C
	v_add_f32_e32 v98, v29, v98                                // 0000000049CC: 02C4C51D
	v_add_f32_e32 v98, v30, v98                                // 0000000049D0: 02C4C51E
	v_add_f32_e32 v98, v31, v98                                // 0000000049D4: 02C4C51F
	buffer_load_dwordx4 a[68:71], v113, s[16:19], 0 offen      // 0000000049D8: E05C1000 80844471
	buffer_load_dwordx4 a[64:67], v112, s[16:19], 0 offen      // 0000000049E0: E05C1000 80844070
	s_waitcnt lgkmcnt(0)                                       // 0000000049E8: BF8CC07F
	v_sub_f32_e32 v92, v92, v96                                // 0000000049EC: 04B8C15C
	v_mul_f32_e32 v92, s46, v92                                // 0000000049F0: 0AB8B82E
	v_exp_f32_e32 v92, v92                                     // 0000000049F4: 7EB8415C
	s_nop 0                                                    // 0000000049F8: BF800000
	v_mul_f32_e32 v92, v69, v92                                // 0000000049FC: 0AB8B945
	v_add_f32_e32 v92, 0x3089705f, v92                         // 000000004A00: 02B8B8FF 3089705F
	v_rcp_f32_e32 v92, v92                                     // 000000004A08: 7EB8455C
	s_nop 0                                                    // 000000004A0C: BF800000
	v_mul_f32_e32 v92, 0x43700000, v92                         // 000000004A10: 0AB8B8FF 43700000
	v_mov_b32_e32 v93, v92                                     // 000000004A18: 7EBA035C
	v_pk_mul_f32 v[16:17], v[92:93], v[32:33]                  // 000000004A1C: D3B14010 1802415C
	v_pk_mul_f32 v[18:19], v[92:93], v[34:35]                  // 000000004A24: D3B14012 1802455C
	v_pk_mul_f32 v[20:21], v[92:93], v[36:37]                  // 000000004A2C: D3B14014 1802495C
	v_pk_mul_f32 v[22:23], v[92:93], v[38:39]                  // 000000004A34: D3B14016 18024D5C
	v_pk_mul_f32 v[24:25], v[92:93], v[40:41]                  // 000000004A3C: D3B14018 1802515C
	v_pk_mul_f32 v[26:27], v[92:93], v[42:43]                  // 000000004A44: D3B1401A 1802555C
	v_pk_mul_f32 v[28:29], v[92:93], v[44:45]                  // 000000004A4C: D3B1401C 1802595C
	v_pk_mul_f32 v[30:31], v[92:93], v[46:47]                  // 000000004A54: D3B1401E 18025D5C
	v_cvt_pk_fp8_f32 v16, v16, v17                             // 000000004A5C: D2A20010 00022310
	v_cvt_pk_fp8_f32 v16, v18, v19 op_sel:[0,0,1]              // 000000004A64: D2A24010 00022712
	v_cvt_pk_fp8_f32 v17, v20, v21                             // 000000004A6C: D2A20011 00022B14
	v_cvt_pk_fp8_f32 v17, v22, v23 op_sel:[0,0,1]              // 000000004A74: D2A24011 00022F16
	v_cvt_pk_fp8_f32 v18, v24, v25                             // 000000004A7C: D2A20012 00023318
	v_cvt_pk_fp8_f32 v18, v26, v27 op_sel:[0,0,1]              // 000000004A84: D2A24012 0002371A
	v_cvt_pk_fp8_f32 v19, v28, v29                             // 000000004A8C: D2A20013 00023B1C
	v_cvt_pk_fp8_f32 v19, v30, v31 op_sel:[0,0,1]              // 000000004A94: D2A24013 00023F1E
	ds_write_b32 v130, v16 offset:2560                         // 000000004A9C: D81A0A00 00001082
	ds_write_b32 v130, v17 offset:3584                         // 000000004AA4: D81A0E00 00001182
	ds_write_b32 v130, v18 offset:4608                         // 000000004AAC: D81A1200 00001282
	ds_write_b32 v130, v19 offset:5632                         // 000000004AB4: D81A1600 00001382
	v_rcp_f32_e32 v70, v92                                     // 000000004ABC: 7E8C455C
	s_nop 0                                                    // 000000004AC0: BF800000
	v_mov_b32_e32 v71, v70                                     // 000000004AC4: 7E8E0346
	buffer_load_dwordx4 a[72:75], v114, s[16:19], 0 offen      // 000000004AC8: E05C1000 80844872
	v_pk_add_f32 v[56:57], v[56:57], v[48:49]                  // 000000004AD0: D3B24038 18026138
	v_pk_add_f32 v[58:59], v[58:59], v[50:51]                  // 000000004AD8: D3B2403A 1802653A
	v_pk_add_f32 v[60:61], v[60:61], v[52:53]                  // 000000004AE0: D3B2403C 1802693C
	v_pk_add_f32 v[62:63], v[62:63], v[54:55]                  // 000000004AE8: D3B2403E 18026D3E
	s_waitcnt lgkmcnt(0)                                       // 000000004AF0: BF8CC07F
	s_barrier                                                  // 000000004AF4: BF8A0000
	ds_read_b128 v[16:19], v131 offset:2560                    // 000000004AF8: D9FE0A00 10000083
	ds_read_b128 v[20:23], v131 offset:3584                    // 000000004B00: D9FE0E00 14000083
	ds_read_b128 v[24:27], v131 offset:4608                    // 000000004B08: D9FE1200 18000083
	ds_read_b128 v[28:31], v131 offset:5632                    // 000000004B10: D9FE1600 1C000083
	buffer_load_dwordx4 a[76:79], v115, s[16:19], 0 offen      // 000000004B18: E05C1000 80844C73
	s_waitcnt vmcnt(14)                                        // 000000004B20: BF8C0F7E
	s_waitcnt lgkmcnt(3)                                       // 000000004B24: BF8CC37F
	v_mfma_f32_16x16x32_fp8_fp8 v[48:51], a[96:97], v[16:17], 0// 000000004B28: D3F30030 0A022160
	v_mfma_f32_16x16x32_fp8_fp8 v[52:55], a[112:113], v[16:17], 0// 000000004B30: D3F30034 0A022170
	v_mfma_f32_16x16x32_fp8_fp8 v[48:51], a[98:99], v[18:19], v[48:51]// 000000004B38: D3F30030 0CC22562
	buffer_load_dwordx4 a[80:83], v112, s[16:19], 0 offen offset:1024// 000000004B40: E05C1400 80845070
	v_mfma_f32_16x16x32_fp8_fp8 v[52:55], a[114:115], v[18:19], v[52:55]// 000000004B48: D3F30034 0CD22572
	s_waitcnt lgkmcnt(2)                                       // 000000004B50: BF8CC27F
	v_mfma_f32_16x16x32_fp8_fp8 v[48:51], a[100:101], v[20:21], v[48:51]// 000000004B54: D3F30030 0CC22964
	v_mfma_f32_16x16x32_fp8_fp8 v[52:55], a[116:117], v[20:21], v[52:55]// 000000004B5C: D3F30034 0CD22974
	v_mfma_f32_16x16x32_fp8_fp8 v[48:51], a[102:103], v[22:23], v[48:51]// 000000004B64: D3F30030 0CC22D66
	buffer_load_dwordx4 a[84:87], v113, s[16:19], 0 offen offset:1024// 000000004B6C: E05C1400 80845471
	v_mfma_f32_16x16x32_fp8_fp8 v[52:55], a[118:119], v[22:23], v[52:55]// 000000004B74: D3F30034 0CD22D76
	s_waitcnt lgkmcnt(1)                                       // 000000004B7C: BF8CC17F
	v_mfma_f32_16x16x32_fp8_fp8 v[48:51], a[104:105], v[24:25], v[48:51]// 000000004B80: D3F30030 0CC23168
	v_mfma_f32_16x16x32_fp8_fp8 v[52:55], a[120:121], v[24:25], v[52:55]// 000000004B88: D3F30034 0CD23178
	v_mfma_f32_16x16x32_fp8_fp8 v[48:51], a[106:107], v[26:27], v[48:51]// 000000004B90: D3F30030 0CC2356A
	buffer_load_dwordx4 a[88:91], v114, s[16:19], 0 offen offset:1024// 000000004B98: E05C1400 80845872
	v_mfma_f32_16x16x32_fp8_fp8 v[52:55], a[122:123], v[26:27], v[52:55]// 000000004BA0: D3F30034 0CD2357A
	s_waitcnt lgkmcnt(0)                                       // 000000004BA8: BF8CC07F
	v_mfma_f32_16x16x32_fp8_fp8 v[48:51], a[108:109], v[28:29], v[48:51]// 000000004BAC: D3F30030 0CC2396C
	v_mfma_f32_16x16x32_fp8_fp8 v[52:55], a[124:125], v[28:29], v[52:55]// 000000004BB4: D3F30034 0CD2397C
	v_mfma_f32_16x16x32_fp8_fp8 v[48:51], a[110:111], v[30:31], v[48:51]// 000000004BBC: D3F30030 0CC23D6E
	buffer_load_dwordx4 a[92:95], v115, s[16:19], 0 offen offset:1024// 000000004BC4: E05C1400 80845C73
	v_mfma_f32_16x16x32_fp8_fp8 v[52:55], a[126:127], v[30:31], v[52:55]// 000000004BCC: D3F30034 0CD23D7E
	s_addk_i32 s64, 0x100                                      // 000000004BD4: B7400100
	s_branch label_0609                                        // 000000004BD8: BF82FC92

0000000000004bdc <label_0977>:
	s_cmp_lt_i32 s64, s62                                      // 000000004BDC: BF043E40
	s_cbranch_scc0 label_10F7                                  // 000000004BE0: BF84077E
	s_waitcnt vmcnt(10)                                        // 000000004BE4: BF8C0F7A
	s_lshl_b32 s68, s76, 2                                     // 000000004BE8: 8E44824C
	s_cmp_lt_u32 s76, s77                                      // 000000004BEC: BF0A4D4C
	s_cselect_b32 s68, s68, 0                                  // 000000004BF0: 85448044
	s_addk_i32 s76, 0x1                                        // 000000004BF4: B74C0001
	s_load_dword s59, s[42:43], s68                            // 000000004BF8: C0000ED5 00000044
	s_waitcnt lgkmcnt(0)                                       // 000000004C00: BF8CC07F
	s_mul_i32 s69, s59, s50                                    // 000000004C04: 9245323B
	s_mul_i32 s71, s59, s66                                    // 000000004C08: 9247423B
	s_mul_i32 s54, s78, s51                                    // 000000004C0C: 9236334E
	s_add_u32 s69, s69, s54                                    // 000000004C10: 80453645
	s_mov_b32 s70, s69                                         // 000000004C14: BEC60045
	s_mul_i32 s54, s78, 4                                      // 000000004C18: 9236844E
	s_add_u32 s71, s71, s54                                    // 000000004C1C: 80473647
	s_add_u32 s12, s86, s69                                    // 000000004C20: 800C4556
	s_addc_u32 s13, s87, 0                                     // 000000004C24: 820D8057
	s_add_u32 s16, s88, s70                                    // 000000004C28: 80104658
	s_addc_u32 s17, s89, 0                                     // 000000004C2C: 82118059
	s_add_u32 s20, s90, s71                                    // 000000004C30: 8014475A
	s_addc_u32 s21, s91, 0                                     // 000000004C34: 8215805B
	s_add_u32 s24, s92, s71                                    // 000000004C38: 8018475C
	s_addc_u32 s25, s93, 0                                     // 000000004C3C: 8219805D
	v_mfma_f32_16x16x32_fp8_fp8 v[16:19], a[0:1], v[8:9], 0    // 000000004C40: D3F30010 0A021100
	v_mfma_f32_16x16x32_fp8_fp8 v[16:19], a[2:3], v[10:11], v[16:19]// 000000004C48: D3F30010 0C421502
	v_mfma_f32_16x16x32_fp8_fp8 v[16:19], a[4:5], v[12:13], v[16:19]// 000000004C50: D3F30010 0C421904
	buffer_load_dwordx4 a[32:35], v110, s[12:15], 0 offen      // 000000004C58: E05C1000 8083206E
	v_mfma_f32_16x16x32_fp8_fp8 v[16:19], a[6:7], v[14:15], v[16:19]// 000000004C60: D3F30010 0C421D06
	v_mfma_f32_16x16x32_fp8_fp8 v[20:23], a[8:9], v[8:9], 0    // 000000004C68: D3F30014 0A021108
	v_mfma_f32_16x16x32_fp8_fp8 v[20:23], a[10:11], v[10:11], v[20:23]// 000000004C70: D3F30014 0C52150A
	v_mfma_f32_16x16x32_fp8_fp8 v[20:23], a[12:13], v[12:13], v[20:23]// 000000004C78: D3F30014 0C52190C
	buffer_load_dwordx4 a[36:39], v111, s[12:15], 0 offen      // 000000004C80: E05C1000 8083246F
	v_mfma_f32_16x16x32_fp8_fp8 v[20:23], a[14:15], v[14:15], v[20:23]// 000000004C88: D3F30014 0C521D0E
	v_mfma_f32_16x16x32_fp8_fp8 v[24:27], a[16:17], v[8:9], 0  // 000000004C90: D3F30018 0A021110
	v_mfma_f32_16x16x32_fp8_fp8 v[24:27], a[18:19], v[10:11], v[24:27]// 000000004C98: D3F30018 0C621512
	v_mfma_f32_16x16x32_fp8_fp8 v[24:27], a[20:21], v[12:13], v[24:27]// 000000004CA0: D3F30018 0C621914
	buffer_load_dwordx4 a[40:43], v110, s[12:15], 0 offen offset:1024// 000000004CA8: E05C1400 8083286E
	v_mfma_f32_16x16x32_fp8_fp8 v[24:27], a[22:23], v[14:15], v[24:27]// 000000004CB0: D3F30018 0C621D16
	v_mfma_f32_16x16x32_fp8_fp8 v[28:31], a[24:25], v[8:9], 0  // 000000004CB8: D3F3001C 0A021118
	v_mfma_f32_16x16x32_fp8_fp8 v[28:31], a[26:27], v[10:11], v[28:31]// 000000004CC0: D3F3001C 0C72151A
	v_mfma_f32_16x16x32_fp8_fp8 v[28:31], a[28:29], v[12:13], v[28:31]// 000000004CC8: D3F3001C 0C72191C
	buffer_load_dwordx4 a[44:47], v111, s[12:15], 0 offen offset:1024// 000000004CD0: E05C1400 80832C6F
	v_mfma_f32_16x16x32_fp8_fp8 v[28:31], a[30:31], v[14:15], v[28:31]// 000000004CD8: D3F3001C 0C721D1E
	s_waitcnt vmcnt(12)                                        // 000000004CE0: BF8C0F7C
	v_pk_mul_f32 v[16:17], v[64:65], v[16:17]                  // 000000004CE4: D3B14010 18022140
	v_pk_mul_f32 v[18:19], v[64:65], v[18:19]                  // 000000004CEC: D3B14012 18022540
	v_mul_f32_dpp v16, v66, v16 row_newbcast:0 row_mask:0xf bank_mask:0xf// 000000004CF4: 0A2020FA FF015042
	v_mul_f32_dpp v17, v66, v17 row_newbcast:1 row_mask:0xf bank_mask:0xf// 000000004CFC: 0A2222FA FF015142
	v_mul_f32_dpp v18, v66, v18 row_newbcast:2 row_mask:0xf bank_mask:0xf// 000000004D04: 0A2424FA FF015242
	v_mul_f32_dpp v19, v66, v19 row_newbcast:3 row_mask:0xf bank_mask:0xf// 000000004D0C: 0A2626FA FF015342
	v_pk_mul_f32 v[20:21], v[64:65], v[20:21]                  // 000000004D14: D3B14014 18022940
	v_pk_mul_f32 v[22:23], v[64:65], v[22:23]                  // 000000004D1C: D3B14016 18022D40
	v_mul_f32_dpp v20, v66, v20 row_newbcast:4 row_mask:0xf bank_mask:0xf// 000000004D24: 0A2828FA FF015442
	v_mul_f32_dpp v21, v66, v21 row_newbcast:5 row_mask:0xf bank_mask:0xf// 000000004D2C: 0A2A2AFA FF015542
	v_mul_f32_dpp v22, v66, v22 row_newbcast:6 row_mask:0xf bank_mask:0xf// 000000004D34: 0A2C2CFA FF015642
	v_mul_f32_dpp v23, v66, v23 row_newbcast:7 row_mask:0xf bank_mask:0xf// 000000004D3C: 0A2E2EFA FF015742
	v_pk_mul_f32 v[24:25], v[64:65], v[24:25]                  // 000000004D44: D3B14018 18023140
	v_pk_mul_f32 v[26:27], v[64:65], v[26:27]                  // 000000004D4C: D3B1401A 18023540
	v_mul_f32_dpp v24, v66, v24 row_newbcast:8 row_mask:0xf bank_mask:0xf// 000000004D54: 0A3030FA FF015842
	v_mul_f32_dpp v25, v66, v25 row_newbcast:9 row_mask:0xf bank_mask:0xf// 000000004D5C: 0A3232FA FF015942
	v_mul_f32_dpp v26, v66, v26 row_newbcast:10 row_mask:0xf bank_mask:0xf// 000000004D64: 0A3434FA FF015A42
	v_mul_f32_dpp v27, v66, v27 row_newbcast:11 row_mask:0xf bank_mask:0xf// 000000004D6C: 0A3636FA FF015B42
	v_pk_mul_f32 v[28:29], v[64:65], v[28:29]                  // 000000004D74: D3B1401C 18023940
	v_pk_mul_f32 v[30:31], v[64:65], v[30:31]                  // 000000004D7C: D3B1401E 18023D40
	v_mul_f32_dpp v28, v66, v28 row_newbcast:12 row_mask:0xf bank_mask:0xf// 000000004D84: 0A3838FA FF015C42
	v_mul_f32_dpp v29, v66, v29 row_newbcast:13 row_mask:0xf bank_mask:0xf// 000000004D8C: 0A3A3AFA FF015D42
	v_mul_f32_dpp v30, v66, v30 row_newbcast:14 row_mask:0xf bank_mask:0xf// 000000004D94: 0A3C3CFA FF015E42
	v_mul_f32_dpp v31, v66, v31 row_newbcast:15 row_mask:0xf bank_mask:0xf// 000000004D9C: 0A3E3EFA FF015F42
	buffer_load_dwordx4 a[48:51], v110, s[12:15], 0 offen offset:2048// 000000004DA4: E05C1800 8083306E
	v_add_u32_e32 v72, s64, v106                               // 000000004DAC: 6890D440
	v_add_u32_e32 v73, 0, v72                                  // 000000004DB0: 68929080
	v_cmp_lt_u32_e64 s[98:99], v73, v105                       // 000000004DB4: D0C90062 0002D349
	s_nop 0                                                    // 000000004DBC: BF800000
	v_cndmask_b32_e64 v16, v107, v16, s[98:99]                 // 000000004DC0: D1000010 018A216B
	v_add_u32_e32 v73, 1, v72                                  // 000000004DC8: 68929081
	v_cmp_lt_u32_e64 s[98:99], v73, v105                       // 000000004DCC: D0C90062 0002D349
	s_nop 0                                                    // 000000004DD4: BF800000
	v_cndmask_b32_e64 v17, v107, v17, s[98:99]                 // 000000004DD8: D1000011 018A236B
	v_add_u32_e32 v73, 2, v72                                  // 000000004DE0: 68929082
	v_cmp_lt_u32_e64 s[98:99], v73, v105                       // 000000004DE4: D0C90062 0002D349
	s_nop 0                                                    // 000000004DEC: BF800000
	v_cndmask_b32_e64 v18, v107, v18, s[98:99]                 // 000000004DF0: D1000012 018A256B
	v_add_u32_e32 v73, 3, v72                                  // 000000004DF8: 68929083
	v_cmp_lt_u32_e64 s[98:99], v73, v105                       // 000000004DFC: D0C90062 0002D349
	s_nop 0                                                    // 000000004E04: BF800000
	v_cndmask_b32_e64 v19, v107, v19, s[98:99]                 // 000000004E08: D1000013 018A276B
	v_add_u32_e32 v73, 64, v72                                 // 000000004E10: 689290C0
	v_cmp_lt_u32_e64 s[98:99], v73, v105                       // 000000004E14: D0C90062 0002D349
	s_nop 0                                                    // 000000004E1C: BF800000
	v_cndmask_b32_e64 v20, v107, v20, s[98:99]                 // 000000004E20: D1000014 018A296B
	v_add_u32_e32 v73, 0x41, v72                               // 000000004E28: 689290FF 00000041
	v_cmp_lt_u32_e64 s[98:99], v73, v105                       // 000000004E30: D0C90062 0002D349
	s_nop 0                                                    // 000000004E38: BF800000
	v_cndmask_b32_e64 v21, v107, v21, s[98:99]                 // 000000004E3C: D1000015 018A2B6B
	v_add_u32_e32 v73, 0x42, v72                               // 000000004E44: 689290FF 00000042
	v_cmp_lt_u32_e64 s[98:99], v73, v105                       // 000000004E4C: D0C90062 0002D349
	s_nop 0                                                    // 000000004E54: BF800000
	v_cndmask_b32_e64 v22, v107, v22, s[98:99]                 // 000000004E58: D1000016 018A2D6B
	v_add_u32_e32 v73, 0x43, v72                               // 000000004E60: 689290FF 00000043
	v_cmp_lt_u32_e64 s[98:99], v73, v105                       // 000000004E68: D0C90062 0002D349
	s_nop 0                                                    // 000000004E70: BF800000
	v_cndmask_b32_e64 v23, v107, v23, s[98:99]                 // 000000004E74: D1000017 018A2F6B
	v_add_u32_e32 v73, 0x80, v72                               // 000000004E7C: 689290FF 00000080
	v_cmp_lt_u32_e64 s[98:99], v73, v105                       // 000000004E84: D0C90062 0002D349
	s_nop 0                                                    // 000000004E8C: BF800000
	v_cndmask_b32_e64 v24, v107, v24, s[98:99]                 // 000000004E90: D1000018 018A316B
	v_add_u32_e32 v73, 0x81, v72                               // 000000004E98: 689290FF 00000081
	v_cmp_lt_u32_e64 s[98:99], v73, v105                       // 000000004EA0: D0C90062 0002D349
	s_nop 0                                                    // 000000004EA8: BF800000
	v_cndmask_b32_e64 v25, v107, v25, s[98:99]                 // 000000004EAC: D1000019 018A336B
	v_add_u32_e32 v73, 0x82, v72                               // 000000004EB4: 689290FF 00000082
	v_cmp_lt_u32_e64 s[98:99], v73, v105                       // 000000004EBC: D0C90062 0002D349
	s_nop 0                                                    // 000000004EC4: BF800000
	v_cndmask_b32_e64 v26, v107, v26, s[98:99]                 // 000000004EC8: D100001A 018A356B
	v_add_u32_e32 v73, 0x83, v72                               // 000000004ED0: 689290FF 00000083
	v_cmp_lt_u32_e64 s[98:99], v73, v105                       // 000000004ED8: D0C90062 0002D349
	s_nop 0                                                    // 000000004EE0: BF800000
	v_cndmask_b32_e64 v27, v107, v27, s[98:99]                 // 000000004EE4: D100001B 018A376B
	v_add_u32_e32 v73, 0xc0, v72                               // 000000004EEC: 689290FF 000000C0
	v_cmp_lt_u32_e64 s[98:99], v73, v105                       // 000000004EF4: D0C90062 0002D349
	s_nop 0                                                    // 000000004EFC: BF800000
	v_cndmask_b32_e64 v28, v107, v28, s[98:99]                 // 000000004F00: D100001C 018A396B
	v_add_u32_e32 v73, 0xc1, v72                               // 000000004F08: 689290FF 000000C1
	v_cmp_lt_u32_e64 s[98:99], v73, v105                       // 000000004F10: D0C90062 0002D349
	s_nop 0                                                    // 000000004F18: BF800000
	v_cndmask_b32_e64 v29, v107, v29, s[98:99]                 // 000000004F1C: D100001D 018A3B6B
	v_add_u32_e32 v73, 0xc2, v72                               // 000000004F24: 689290FF 000000C2
	v_cmp_lt_u32_e64 s[98:99], v73, v105                       // 000000004F2C: D0C90062 0002D349
	s_nop 0                                                    // 000000004F34: BF800000
	v_cndmask_b32_e64 v30, v107, v30, s[98:99]                 // 000000004F38: D100001E 018A3D6B
	v_add_u32_e32 v73, 0xc3, v72                               // 000000004F40: 689290FF 000000C3
	v_cmp_lt_u32_e64 s[98:99], v73, v105                       // 000000004F48: D0C90062 0002D349
	s_nop 0                                                    // 000000004F50: BF800000
	v_cndmask_b32_e64 v31, v107, v31, s[98:99]                 // 000000004F54: D100001F 018A3F6B
	v_mov_b32_e32 v92, v16                                     // 000000004F5C: 7EB80310
	v_max3_f32 v92, v16, v17, v92                              // 000000004F60: D1D3005C 05722310
	v_max3_f32 v92, v18, v19, v92                              // 000000004F68: D1D3005C 05722712
	v_max3_f32 v92, v20, v21, v92                              // 000000004F70: D1D3005C 05722B14
	v_max3_f32 v92, v22, v23, v92                              // 000000004F78: D1D3005C 05722F16
	v_max3_f32 v92, v24, v25, v92                              // 000000004F80: D1D3005C 05723318
	v_max3_f32 v92, v26, v27, v92                              // 000000004F88: D1D3005C 0572371A
	v_max3_f32 v92, v28, v29, v92                              // 000000004F90: D1D3005C 05723B1C
	v_max3_f32 v92, v30, v31, v92                              // 000000004F98: D1D3005C 05723F1E
	ds_write_b32 v128, v92                                     // 000000004FA0: D81A0000 00005C80
	v_pk_mul_f32 v[56:57], v[94:95], v[56:57]                  // 000000004FA8: D3B14038 1802715E
	v_pk_mul_f32 v[58:59], v[94:95], v[58:59]                  // 000000004FB0: D3B1403A 1802755E
	v_pk_mul_f32 v[60:61], v[94:95], v[60:61]                  // 000000004FB8: D3B1403C 1802795E
	v_pk_mul_f32 v[62:63], v[94:95], v[62:63]                  // 000000004FC0: D3B1403E 18027D5E
	buffer_load_dwordx4 a[52:55], v111, s[12:15], 0 offen offset:2048// 000000004FC8: E05C1800 8083346F
	s_waitcnt lgkmcnt(0)                                       // 000000004FD0: BF8CC07F
	s_barrier                                                  // 000000004FD4: BF8A0000
	ds_read_b32 v76, v129                                      // 000000004FD8: D86C0000 4C000081
	ds_read_b32 v77, v129 offset:64                            // 000000004FE0: D86C0040 4D000081
	ds_read_b32 v78, v129 offset:128                           // 000000004FE8: D86C0080 4E000081
	ds_read_b32 v79, v129 offset:192                           // 000000004FF0: D86C00C0 4F000081
	ds_read_b32 v80, v129 offset:256                           // 000000004FF8: D86C0100 50000081
	ds_read_b32 v81, v129 offset:320                           // 000000005000: D86C0140 51000081
	ds_read_b32 v82, v129 offset:384                           // 000000005008: D86C0180 52000081
	ds_read_b32 v83, v129 offset:448                           // 000000005010: D86C01C0 53000081
	ds_read_b32 v84, v129 offset:512                           // 000000005018: D86C0200 54000081
	ds_read_b32 v85, v129 offset:576                           // 000000005020: D86C0240 55000081
	ds_read_b32 v86, v129 offset:640                           // 000000005028: D86C0280 56000081
	ds_read_b32 v87, v129 offset:704                           // 000000005030: D86C02C0 57000081
	ds_read_b32 v88, v129 offset:768                           // 000000005038: D86C0300 58000081
	ds_read_b32 v89, v129 offset:832                           // 000000005040: D86C0340 59000081
	ds_read_b32 v90, v129 offset:896                           // 000000005048: D86C0380 5A000081
	ds_read_b32 v91, v129 offset:960                           // 000000005050: D86C03C0 5B000081
	buffer_load_dwordx4 a[60:63], v111, s[12:15], 0 offen offset:3072// 000000005058: E05C1C00 80833C6F
	v_pk_mul_f32 v[48:49], v[70:71], v[48:49]                  // 000000005060: D3B14030 18026146
	v_pk_mul_f32 v[50:51], v[70:71], v[50:51]                  // 000000005068: D3B14032 18026546
	v_pk_mul_f32 v[52:53], v[70:71], v[52:53]                  // 000000005070: D3B14034 18026946
	v_pk_mul_f32 v[54:55], v[70:71], v[54:55]                  // 000000005078: D3B14036 18026D46
	buffer_load_dwordx4 a[56:59], v110, s[12:15], 0 offen offset:3072// 000000005080: E05C1C00 8083386E
	s_waitcnt lgkmcnt(0)                                       // 000000005088: BF8CC07F
	v_max3_f32 v92, v76, v77, v92                              // 00000000508C: D1D3005C 05729B4C
	v_max3_f32 v92, v78, v79, v92                              // 000000005094: D1D3005C 05729F4E
	v_max3_f32 v92, v80, v81, v92                              // 00000000509C: D1D3005C 0572A350
	v_max3_f32 v92, v82, v83, v92                              // 0000000050A4: D1D3005C 0572A752
	v_max3_f32 v92, v84, v85, v92                              // 0000000050AC: D1D3005C 0572AB54
	v_max3_f32 v92, v86, v87, v92                              // 0000000050B4: D1D3005C 0572AF56
	v_max3_f32 v92, v88, v89, v92                              // 0000000050BC: D1D3005C 0572B358
	v_max3_f32 v92, v90, v91, v92                              // 0000000050C4: D1D3005C 0572B75A
	v_max_f32_e32 v97, v92, v96                                // 0000000050CC: 16C2C15C
	v_mul_f32_e64 v72, -s46, v97                               // 0000000050D0: D1050048 2002C22E
	v_mov_b32_e32 v73, v72                                     // 0000000050D8: 7E920348
	v_pk_fma_f32 v[16:17], v[16:17], s[46:47], v[72:73]        // 0000000050DC: D3B04010 1D205D10
	v_pk_fma_f32 v[18:19], v[18:19], s[46:47], v[72:73]        // 0000000050E4: D3B04012 1D205D12
	v_exp_f32_e32 v16, v16                                     // 0000000050EC: 7E204110
	v_exp_f32_e32 v17, v17                                     // 0000000050F0: 7E224111
	v_exp_f32_e32 v18, v18                                     // 0000000050F4: 7E244112
	v_exp_f32_e32 v19, v19                                     // 0000000050F8: 7E264113
	v_pk_fma_f32 v[20:21], v[20:21], s[46:47], v[72:73]        // 0000000050FC: D3B04014 1D205D14
	v_pk_fma_f32 v[22:23], v[22:23], s[46:47], v[72:73]        // 000000005104: D3B04016 1D205D16
	v_exp_f32_e32 v20, v20                                     // 00000000510C: 7E284114
	v_exp_f32_e32 v21, v21                                     // 000000005110: 7E2A4115
	v_exp_f32_e32 v22, v22                                     // 000000005114: 7E2C4116
	v_exp_f32_e32 v23, v23                                     // 000000005118: 7E2E4117
	v_pk_fma_f32 v[24:25], v[24:25], s[46:47], v[72:73]        // 00000000511C: D3B04018 1D205D18
	v_pk_fma_f32 v[26:27], v[26:27], s[46:47], v[72:73]        // 000000005124: D3B0401A 1D205D1A
	v_exp_f32_e32 v24, v24                                     // 00000000512C: 7E304118
	v_exp_f32_e32 v25, v25                                     // 000000005130: 7E324119
	v_exp_f32_e32 v26, v26                                     // 000000005134: 7E34411A
	v_exp_f32_e32 v27, v27                                     // 000000005138: 7E36411B
	v_pk_fma_f32 v[28:29], v[28:29], s[46:47], v[72:73]        // 00000000513C: D3B0401C 1D205D1C
	v_pk_fma_f32 v[30:31], v[30:31], s[46:47], v[72:73]        // 000000005144: D3B0401E 1D205D1E
	v_exp_f32_e32 v28, v28                                     // 00000000514C: 7E38411C
	v_exp_f32_e32 v29, v29                                     // 000000005150: 7E3A411D
	v_exp_f32_e32 v30, v30                                     // 000000005154: 7E3C411E
	v_exp_f32_e32 v31, v31                                     // 000000005158: 7E3E411F
	v_mul_f32_dpp v32, v68, v16 row_newbcast:0 row_mask:0xf bank_mask:0xf// 00000000515C: 0A4020FA FF015044
	v_mul_f32_dpp v33, v68, v17 row_newbcast:1 row_mask:0xf bank_mask:0xf// 000000005164: 0A4222FA FF015144
	v_mul_f32_dpp v34, v68, v18 row_newbcast:2 row_mask:0xf bank_mask:0xf// 00000000516C: 0A4424FA FF015244
	v_mul_f32_dpp v35, v68, v19 row_newbcast:3 row_mask:0xf bank_mask:0xf// 000000005174: 0A4626FA FF015344
	v_mul_f32_dpp v36, v68, v20 row_newbcast:4 row_mask:0xf bank_mask:0xf// 00000000517C: 0A4828FA FF015444
	v_mul_f32_dpp v37, v68, v21 row_newbcast:5 row_mask:0xf bank_mask:0xf// 000000005184: 0A4A2AFA FF015544
	v_mul_f32_dpp v38, v68, v22 row_newbcast:6 row_mask:0xf bank_mask:0xf// 00000000518C: 0A4C2CFA FF015644
	v_mul_f32_dpp v39, v68, v23 row_newbcast:7 row_mask:0xf bank_mask:0xf// 000000005194: 0A4E2EFA FF015744
	v_mul_f32_dpp v40, v68, v24 row_newbcast:8 row_mask:0xf bank_mask:0xf// 00000000519C: 0A5030FA FF015844
	v_mul_f32_dpp v41, v68, v25 row_newbcast:9 row_mask:0xf bank_mask:0xf// 0000000051A4: 0A5232FA FF015944
	v_mul_f32_dpp v42, v68, v26 row_newbcast:10 row_mask:0xf bank_mask:0xf// 0000000051AC: 0A5434FA FF015A44
	v_mul_f32_dpp v43, v68, v27 row_newbcast:11 row_mask:0xf bank_mask:0xf// 0000000051B4: 0A5636FA FF015B44
	v_mul_f32_dpp v44, v68, v28 row_newbcast:12 row_mask:0xf bank_mask:0xf// 0000000051BC: 0A5838FA FF015C44
	v_mul_f32_dpp v45, v68, v29 row_newbcast:13 row_mask:0xf bank_mask:0xf// 0000000051C4: 0A5A3AFA FF015D44
	v_mul_f32_dpp v46, v68, v30 row_newbcast:14 row_mask:0xf bank_mask:0xf// 0000000051CC: 0A5C3CFA FF015E44
	v_mul_f32_dpp v47, v68, v31 row_newbcast:15 row_mask:0xf bank_mask:0xf// 0000000051D4: 0A5E3EFA FF015F44
	v_add_u32_e32 v72, s64, v106                               // 0000000051DC: 6890D440
	v_add_u32_e32 v73, 0, v72                                  // 0000000051E0: 68929080
	v_cmp_lt_u32_e32 vcc, v73, v105                            // 0000000051E4: 7D92D349
	v_cndmask_b32_e32 v32, 0, v32, vcc                         // 0000000051E8: 00404080
	v_add_u32_e32 v73, 1, v72                                  // 0000000051EC: 68929081
	v_cmp_lt_u32_e32 vcc, v73, v105                            // 0000000051F0: 7D92D349
	v_cndmask_b32_e32 v33, 0, v33, vcc                         // 0000000051F4: 00424280
	v_add_u32_e32 v73, 2, v72                                  // 0000000051F8: 68929082
	v_cmp_lt_u32_e32 vcc, v73, v105                            // 0000000051FC: 7D92D349
	v_cndmask_b32_e32 v34, 0, v34, vcc                         // 000000005200: 00444480
	v_add_u32_e32 v73, 3, v72                                  // 000000005204: 68929083
	v_cmp_lt_u32_e32 vcc, v73, v105                            // 000000005208: 7D92D349
	v_cndmask_b32_e32 v35, 0, v35, vcc                         // 00000000520C: 00464680
	v_add_u32_e32 v73, 64, v72                                 // 000000005210: 689290C0
	v_cmp_lt_u32_e32 vcc, v73, v105                            // 000000005214: 7D92D349
	v_cndmask_b32_e32 v36, 0, v36, vcc                         // 000000005218: 00484880
	v_add_u32_e32 v73, 0x41, v72                               // 00000000521C: 689290FF 00000041
	v_cmp_lt_u32_e32 vcc, v73, v105                            // 000000005224: 7D92D349
	v_cndmask_b32_e32 v37, 0, v37, vcc                         // 000000005228: 004A4A80
	v_add_u32_e32 v73, 0x42, v72                               // 00000000522C: 689290FF 00000042
	v_cmp_lt_u32_e32 vcc, v73, v105                            // 000000005234: 7D92D349
	v_cndmask_b32_e32 v38, 0, v38, vcc                         // 000000005238: 004C4C80
	v_add_u32_e32 v73, 0x43, v72                               // 00000000523C: 689290FF 00000043
	v_cmp_lt_u32_e32 vcc, v73, v105                            // 000000005244: 7D92D349
	v_cndmask_b32_e32 v39, 0, v39, vcc                         // 000000005248: 004E4E80
	v_add_u32_e32 v73, 0x80, v72                               // 00000000524C: 689290FF 00000080
	v_cmp_lt_u32_e32 vcc, v73, v105                            // 000000005254: 7D92D349
	v_cndmask_b32_e32 v40, 0, v40, vcc                         // 000000005258: 00505080
	v_add_u32_e32 v73, 0x81, v72                               // 00000000525C: 689290FF 00000081
	v_cmp_lt_u32_e32 vcc, v73, v105                            // 000000005264: 7D92D349
	v_cndmask_b32_e32 v41, 0, v41, vcc                         // 000000005268: 00525280
	v_add_u32_e32 v73, 0x82, v72                               // 00000000526C: 689290FF 00000082
	v_cmp_lt_u32_e32 vcc, v73, v105                            // 000000005274: 7D92D349
	v_cndmask_b32_e32 v42, 0, v42, vcc                         // 000000005278: 00545480
	v_add_u32_e32 v73, 0x83, v72                               // 00000000527C: 689290FF 00000083
	v_cmp_lt_u32_e32 vcc, v73, v105                            // 000000005284: 7D92D349
	v_cndmask_b32_e32 v43, 0, v43, vcc                         // 000000005288: 00565680
	v_add_u32_e32 v73, 0xc0, v72                               // 00000000528C: 689290FF 000000C0
	v_cmp_lt_u32_e32 vcc, v73, v105                            // 000000005294: 7D92D349
	v_cndmask_b32_e32 v44, 0, v44, vcc                         // 000000005298: 00585880
	v_add_u32_e32 v73, 0xc1, v72                               // 00000000529C: 689290FF 000000C1
	v_cmp_lt_u32_e32 vcc, v73, v105                            // 0000000052A4: 7D92D349
	v_cndmask_b32_e32 v45, 0, v45, vcc                         // 0000000052A8: 005A5A80
	v_add_u32_e32 v73, 0xc2, v72                               // 0000000052AC: 689290FF 000000C2
	v_cmp_lt_u32_e32 vcc, v73, v105                            // 0000000052B4: 7D92D349
	v_cndmask_b32_e32 v46, 0, v46, vcc                         // 0000000052B8: 005C5C80
	v_add_u32_e32 v73, 0xc3, v72                               // 0000000052BC: 689290FF 000000C3
	v_cmp_lt_u32_e32 vcc, v73, v105                            // 0000000052C4: 7D92D349
	v_cndmask_b32_e32 v47, 0, v47, vcc                         // 0000000052C8: 005E5E80
	buffer_load_dword v67, v116, s[20:23], 0 offen             // 0000000052CC: E0501000 80054374
	v_sub_f32_e32 v94, v96, v97                                // 0000000052D4: 04BCC360
	v_cmp_eq_u32_e64 s[98:99], v107, v96                       // 0000000052D8: D0CA0062 0002C16B
	s_nop 0                                                    // 0000000052E0: BF800000
	v_cndmask_b32_e64 v94, v94, 0, s[98:99]                    // 0000000052E4: D100005E 0189015E
	v_mov_b32_e32 v96, v97                                     // 0000000052EC: 7EC00361
	v_mul_f32_e32 v94, s46, v94                                // 0000000052F0: 0ABCBC2E
	v_exp_f32_e32 v94, v94                                     // 0000000052F4: 7EBC415E
	s_nop 0                                                    // 0000000052F8: BF800000
	v_mov_b32_e32 v95, v94                                     // 0000000052FC: 7EBE035E
	buffer_load_dword v69, v117, s[24:27], 0 offen             // 000000005300: E0501000 80064575
	s_waitcnt lgkmcnt(0)                                       // 000000005308: BF8CC07F
	s_barrier                                                  // 00000000530C: BF8A0000
	buffer_load_dwordx4 a[96:99], v112, s[16:19], 0 offen      // 000000005310: E05C1000 80846070
	v_mul_f32_e32 v98, v94, v98                                // 000000005318: 0AC4C55E
	v_add_f32_e32 v98, v16, v98                                // 00000000531C: 02C4C510
	v_add_f32_e32 v98, v17, v98                                // 000000005320: 02C4C511
	v_add_f32_e32 v98, v18, v98                                // 000000005324: 02C4C512
	v_add_f32_e32 v98, v19, v98                                // 000000005328: 02C4C513
	v_add_f32_e32 v98, v20, v98                                // 00000000532C: 02C4C514
	v_add_f32_e32 v98, v21, v98                                // 000000005330: 02C4C515
	v_add_f32_e32 v98, v22, v98                                // 000000005334: 02C4C516
	v_add_f32_e32 v98, v23, v98                                // 000000005338: 02C4C517
	v_add_f32_e32 v98, v24, v98                                // 00000000533C: 02C4C518
	v_add_f32_e32 v98, v25, v98                                // 000000005340: 02C4C519
	v_add_f32_e32 v98, v26, v98                                // 000000005344: 02C4C51A
	v_add_f32_e32 v98, v27, v98                                // 000000005348: 02C4C51B
	v_add_f32_e32 v98, v28, v98                                // 00000000534C: 02C4C51C
	v_add_f32_e32 v98, v29, v98                                // 000000005350: 02C4C51D
	v_add_f32_e32 v98, v30, v98                                // 000000005354: 02C4C51E
	v_add_f32_e32 v98, v31, v98                                // 000000005358: 02C4C51F
	buffer_load_dwordx4 a[100:103], v113, s[16:19], 0 offen    // 00000000535C: E05C1000 80846471
	s_waitcnt lgkmcnt(0)                                       // 000000005364: BF8CC07F
	v_sub_f32_e32 v92, v92, v96                                // 000000005368: 04B8C15C
	v_mul_f32_e32 v92, s46, v92                                // 00000000536C: 0AB8B82E
	v_exp_f32_e32 v92, v92                                     // 000000005370: 7EB8415C
	s_nop 0                                                    // 000000005374: BF800000
	v_mul_f32_e32 v92, v68, v92                                // 000000005378: 0AB8B944
	v_add_f32_e32 v92, 0x3089705f, v92                         // 00000000537C: 02B8B8FF 3089705F
	v_rcp_f32_e32 v92, v92                                     // 000000005384: 7EB8455C
	s_nop 0                                                    // 000000005388: BF800000
	v_mul_f32_e32 v92, 0x43700000, v92                         // 00000000538C: 0AB8B8FF 43700000
	v_mov_b32_e32 v93, v92                                     // 000000005394: 7EBA035C
	v_pk_mul_f32 v[16:17], v[92:93], v[32:33]                  // 000000005398: D3B14010 1802415C
	v_pk_mul_f32 v[18:19], v[92:93], v[34:35]                  // 0000000053A0: D3B14012 1802455C
	v_pk_mul_f32 v[20:21], v[92:93], v[36:37]                  // 0000000053A8: D3B14014 1802495C
	v_pk_mul_f32 v[22:23], v[92:93], v[38:39]                  // 0000000053B0: D3B14016 18024D5C
	v_pk_mul_f32 v[24:25], v[92:93], v[40:41]                  // 0000000053B8: D3B14018 1802515C
	v_pk_mul_f32 v[26:27], v[92:93], v[42:43]                  // 0000000053C0: D3B1401A 1802555C
	v_pk_mul_f32 v[28:29], v[92:93], v[44:45]                  // 0000000053C8: D3B1401C 1802595C
	v_pk_mul_f32 v[30:31], v[92:93], v[46:47]                  // 0000000053D0: D3B1401E 18025D5C
	v_cvt_pk_fp8_f32 v16, v16, v17                             // 0000000053D8: D2A20010 00022310
	v_cvt_pk_fp8_f32 v16, v18, v19 op_sel:[0,0,1]              // 0000000053E0: D2A24010 00022712
	v_cvt_pk_fp8_f32 v17, v20, v21                             // 0000000053E8: D2A20011 00022B14
	v_cvt_pk_fp8_f32 v17, v22, v23 op_sel:[0,0,1]              // 0000000053F0: D2A24011 00022F16
	v_cvt_pk_fp8_f32 v18, v24, v25                             // 0000000053F8: D2A20012 00023318
	v_cvt_pk_fp8_f32 v18, v26, v27 op_sel:[0,0,1]              // 000000005400: D2A24012 0002371A
	v_cvt_pk_fp8_f32 v19, v28, v29                             // 000000005408: D2A20013 00023B1C
	v_cvt_pk_fp8_f32 v19, v30, v31 op_sel:[0,0,1]              // 000000005410: D2A24013 00023F1E
	ds_write_b32 v130, v16 offset:2560                         // 000000005418: D81A0A00 00001082
	ds_write_b32 v130, v17 offset:3584                         // 000000005420: D81A0E00 00001182
	ds_write_b32 v130, v18 offset:4608                         // 000000005428: D81A1200 00001282
	ds_write_b32 v130, v19 offset:5632                         // 000000005430: D81A1600 00001382
	v_rcp_f32_e32 v70, v92                                     // 000000005438: 7E8C455C
	s_nop 0                                                    // 00000000543C: BF800000
	v_mov_b32_e32 v71, v70                                     // 000000005440: 7E8E0346
	buffer_load_dwordx4 a[104:107], v114, s[16:19], 0 offen    // 000000005444: E05C1000 80846872
	v_pk_add_f32 v[56:57], v[56:57], v[48:49]                  // 00000000544C: D3B24038 18026138
	v_pk_add_f32 v[58:59], v[58:59], v[50:51]                  // 000000005454: D3B2403A 1802653A
	v_pk_add_f32 v[60:61], v[60:61], v[52:53]                  // 00000000545C: D3B2403C 1802693C
	v_pk_add_f32 v[62:63], v[62:63], v[54:55]                  // 000000005464: D3B2403E 18026D3E
	s_waitcnt lgkmcnt(0)                                       // 00000000546C: BF8CC07F
	s_barrier                                                  // 000000005470: BF8A0000
	ds_read_b128 v[16:19], v131 offset:2560                    // 000000005474: D9FE0A00 10000083
	ds_read_b128 v[20:23], v131 offset:3584                    // 00000000547C: D9FE0E00 14000083
	ds_read_b128 v[24:27], v131 offset:4608                    // 000000005484: D9FE1200 18000083
	ds_read_b128 v[28:31], v131 offset:5632                    // 00000000548C: D9FE1600 1C000083
	buffer_load_dwordx4 a[108:111], v115, s[16:19], 0 offen    // 000000005494: E05C1000 80846C73
	s_waitcnt vmcnt(14)                                        // 00000000549C: BF8C0F7E
	v_lshrrev_b32_e32 v100, 4, v0                              // 0000000054A0: 20C80084
	v_lshlrev_b32_e32 v100, 4, v100                            // 0000000054A4: 24C8C884
	v_add_u32_e32 v72, s64, v100                               // 0000000054A8: 6890C840
	v_add_u32_e32 v72, 4, v72                                  // 0000000054AC: 68909084
	v_sub_i32 v72, v72, s62                                    // 0000000054B0: D29D0048 00007D48
	s_mov_b32 s54, 0                                           // 0000000054B8: BEB60080
	v_add_i32 v73, s54, v72                                    // 0000000054BC: D29C0049 00029036
	v_cmp_lt_i32_e64 vcc, v73, 4                               // 0000000054C4: D0C1006A 00010949
	v_min_u32_e32 v73, 4, v73                                  // 0000000054CC: 1C929284
	v_lshlrev_b32_e32 v73, 3, v73                              // 0000000054D0: 24929283
	v_lshrrev_b32_e64 v74, v73, -1                             // 0000000054D4: D110004A 00018349
	v_accvgpr_read_b32 v75, a64                                // 0000000054DC: D3D8404B 18000140
	v_cndmask_b32_e32 v75, 0, v75, vcc                         // 0000000054E4: 00969680
	v_and_b32_e32 v75, v75, v74                                // 0000000054E8: 2696954B
	v_accvgpr_write_b32 a64, v75                               // 0000000054EC: D3D94040 1800014B
	v_accvgpr_read_b32 v75, a80                                // 0000000054F4: D3D8404B 18000150
	v_cndmask_b32_e32 v75, 0, v75, vcc                         // 0000000054FC: 00969680
	v_and_b32_e32 v75, v75, v74                                // 000000005500: 2696954B
	v_accvgpr_write_b32 a80, v75                               // 000000005504: D3D94050 1800014B
	s_mov_b32 s54, 4                                           // 00000000550C: BEB60084
	v_add_i32 v73, s54, v72                                    // 000000005510: D29C0049 00029036
	v_cmp_lt_i32_e64 vcc, v73, 4                               // 000000005518: D0C1006A 00010949
	v_min_u32_e32 v73, 4, v73                                  // 000000005520: 1C929284
	v_lshlrev_b32_e32 v73, 3, v73                              // 000000005524: 24929283
	v_lshrrev_b32_e64 v74, v73, -1                             // 000000005528: D110004A 00018349
	v_accvgpr_read_b32 v75, a65                                // 000000005530: D3D8404B 18000141
	v_cndmask_b32_e32 v75, 0, v75, vcc                         // 000000005538: 00969680
	v_and_b32_e32 v75, v75, v74                                // 00000000553C: 2696954B
	v_accvgpr_write_b32 a65, v75                               // 000000005540: D3D94041 1800014B
	v_accvgpr_read_b32 v75, a81                                // 000000005548: D3D8404B 18000151
	v_cndmask_b32_e32 v75, 0, v75, vcc                         // 000000005550: 00969680
	v_and_b32_e32 v75, v75, v74                                // 000000005554: 2696954B
	v_accvgpr_write_b32 a81, v75                               // 000000005558: D3D94051 1800014B
	s_mov_b32 s54, 8                                           // 000000005560: BEB60088
	v_add_i32 v73, s54, v72                                    // 000000005564: D29C0049 00029036
	v_cmp_lt_i32_e64 vcc, v73, 4                               // 00000000556C: D0C1006A 00010949
	v_min_u32_e32 v73, 4, v73                                  // 000000005574: 1C929284
	v_lshlrev_b32_e32 v73, 3, v73                              // 000000005578: 24929283
	v_lshrrev_b32_e64 v74, v73, -1                             // 00000000557C: D110004A 00018349
	v_accvgpr_read_b32 v75, a66                                // 000000005584: D3D8404B 18000142
	v_cndmask_b32_e32 v75, 0, v75, vcc                         // 00000000558C: 00969680
	v_and_b32_e32 v75, v75, v74                                // 000000005590: 2696954B
	v_accvgpr_write_b32 a66, v75                               // 000000005594: D3D94042 1800014B
	v_accvgpr_read_b32 v75, a82                                // 00000000559C: D3D8404B 18000152
	v_cndmask_b32_e32 v75, 0, v75, vcc                         // 0000000055A4: 00969680
	v_and_b32_e32 v75, v75, v74                                // 0000000055A8: 2696954B
	v_accvgpr_write_b32 a82, v75                               // 0000000055AC: D3D94052 1800014B
	s_mov_b32 s54, 12                                          // 0000000055B4: BEB6008C
	v_add_i32 v73, s54, v72                                    // 0000000055B8: D29C0049 00029036
	v_cmp_lt_i32_e64 vcc, v73, 4                               // 0000000055C0: D0C1006A 00010949
	v_min_u32_e32 v73, 4, v73                                  // 0000000055C8: 1C929284
	v_lshlrev_b32_e32 v73, 3, v73                              // 0000000055CC: 24929283
	v_lshrrev_b32_e64 v74, v73, -1                             // 0000000055D0: D110004A 00018349
	v_accvgpr_read_b32 v75, a67                                // 0000000055D8: D3D8404B 18000143
	v_cndmask_b32_e32 v75, 0, v75, vcc                         // 0000000055E0: 00969680
	v_and_b32_e32 v75, v75, v74                                // 0000000055E4: 2696954B
	v_accvgpr_write_b32 a67, v75                               // 0000000055E8: D3D94043 1800014B
	v_accvgpr_read_b32 v75, a83                                // 0000000055F0: D3D8404B 18000153
	v_cndmask_b32_e32 v75, 0, v75, vcc                         // 0000000055F8: 00969680
	v_and_b32_e32 v75, v75, v74                                // 0000000055FC: 2696954B
	v_accvgpr_write_b32 a83, v75                               // 000000005600: D3D94053 1800014B
	s_mov_b32 s54, 64                                          // 000000005608: BEB600C0
	v_add_i32 v73, s54, v72                                    // 00000000560C: D29C0049 00029036
	v_cmp_lt_i32_e64 vcc, v73, 4                               // 000000005614: D0C1006A 00010949
	v_min_u32_e32 v73, 4, v73                                  // 00000000561C: 1C929284
	v_lshlrev_b32_e32 v73, 3, v73                              // 000000005620: 24929283
	v_lshrrev_b32_e64 v74, v73, -1                             // 000000005624: D110004A 00018349
	v_accvgpr_read_b32 v75, a68                                // 00000000562C: D3D8404B 18000144
	v_cndmask_b32_e32 v75, 0, v75, vcc                         // 000000005634: 00969680
	v_and_b32_e32 v75, v75, v74                                // 000000005638: 2696954B
	v_accvgpr_write_b32 a68, v75                               // 00000000563C: D3D94044 1800014B
	v_accvgpr_read_b32 v75, a84                                // 000000005644: D3D8404B 18000154
	v_cndmask_b32_e32 v75, 0, v75, vcc                         // 00000000564C: 00969680
	v_and_b32_e32 v75, v75, v74                                // 000000005650: 2696954B
	v_accvgpr_write_b32 a84, v75                               // 000000005654: D3D94054 1800014B
	s_mov_b32 s54, 0x44                                        // 00000000565C: BEB600FF 00000044
	v_add_i32 v73, s54, v72                                    // 000000005664: D29C0049 00029036
	v_cmp_lt_i32_e64 vcc, v73, 4                               // 00000000566C: D0C1006A 00010949
	v_min_u32_e32 v73, 4, v73                                  // 000000005674: 1C929284
	v_lshlrev_b32_e32 v73, 3, v73                              // 000000005678: 24929283
	v_lshrrev_b32_e64 v74, v73, -1                             // 00000000567C: D110004A 00018349
	v_accvgpr_read_b32 v75, a69                                // 000000005684: D3D8404B 18000145
	v_cndmask_b32_e32 v75, 0, v75, vcc                         // 00000000568C: 00969680
	v_and_b32_e32 v75, v75, v74                                // 000000005690: 2696954B
	v_accvgpr_write_b32 a69, v75                               // 000000005694: D3D94045 1800014B
	v_accvgpr_read_b32 v75, a85                                // 00000000569C: D3D8404B 18000155
	v_cndmask_b32_e32 v75, 0, v75, vcc                         // 0000000056A4: 00969680
	v_and_b32_e32 v75, v75, v74                                // 0000000056A8: 2696954B
	v_accvgpr_write_b32 a85, v75                               // 0000000056AC: D3D94055 1800014B
	s_mov_b32 s54, 0x48                                        // 0000000056B4: BEB600FF 00000048
	v_add_i32 v73, s54, v72                                    // 0000000056BC: D29C0049 00029036
	v_cmp_lt_i32_e64 vcc, v73, 4                               // 0000000056C4: D0C1006A 00010949
	v_min_u32_e32 v73, 4, v73                                  // 0000000056CC: 1C929284
	v_lshlrev_b32_e32 v73, 3, v73                              // 0000000056D0: 24929283
	v_lshrrev_b32_e64 v74, v73, -1                             // 0000000056D4: D110004A 00018349
	v_accvgpr_read_b32 v75, a70                                // 0000000056DC: D3D8404B 18000146
	v_cndmask_b32_e32 v75, 0, v75, vcc                         // 0000000056E4: 00969680
	v_and_b32_e32 v75, v75, v74                                // 0000000056E8: 2696954B
	v_accvgpr_write_b32 a70, v75                               // 0000000056EC: D3D94046 1800014B
	v_accvgpr_read_b32 v75, a86                                // 0000000056F4: D3D8404B 18000156
	v_cndmask_b32_e32 v75, 0, v75, vcc                         // 0000000056FC: 00969680
	v_and_b32_e32 v75, v75, v74                                // 000000005700: 2696954B
	v_accvgpr_write_b32 a86, v75                               // 000000005704: D3D94056 1800014B
	s_mov_b32 s54, 0x4c                                        // 00000000570C: BEB600FF 0000004C
	v_add_i32 v73, s54, v72                                    // 000000005714: D29C0049 00029036
	v_cmp_lt_i32_e64 vcc, v73, 4                               // 00000000571C: D0C1006A 00010949
	v_min_u32_e32 v73, 4, v73                                  // 000000005724: 1C929284
	v_lshlrev_b32_e32 v73, 3, v73                              // 000000005728: 24929283
	v_lshrrev_b32_e64 v74, v73, -1                             // 00000000572C: D110004A 00018349
	v_accvgpr_read_b32 v75, a71                                // 000000005734: D3D8404B 18000147
	v_cndmask_b32_e32 v75, 0, v75, vcc                         // 00000000573C: 00969680
	v_and_b32_e32 v75, v75, v74                                // 000000005740: 2696954B
	v_accvgpr_write_b32 a71, v75                               // 000000005744: D3D94047 1800014B
	v_accvgpr_read_b32 v75, a87                                // 00000000574C: D3D8404B 18000157
	v_cndmask_b32_e32 v75, 0, v75, vcc                         // 000000005754: 00969680
	v_and_b32_e32 v75, v75, v74                                // 000000005758: 2696954B
	v_accvgpr_write_b32 a87, v75                               // 00000000575C: D3D94057 1800014B
	s_mov_b32 s54, 0x80                                        // 000000005764: BEB600FF 00000080
	v_add_i32 v73, s54, v72                                    // 00000000576C: D29C0049 00029036
	v_cmp_lt_i32_e64 vcc, v73, 4                               // 000000005774: D0C1006A 00010949
	v_min_u32_e32 v73, 4, v73                                  // 00000000577C: 1C929284
	v_lshlrev_b32_e32 v73, 3, v73                              // 000000005780: 24929283
	v_lshrrev_b32_e64 v74, v73, -1                             // 000000005784: D110004A 00018349
	v_accvgpr_read_b32 v75, a72                                // 00000000578C: D3D8404B 18000148
	v_cndmask_b32_e32 v75, 0, v75, vcc                         // 000000005794: 00969680
	v_and_b32_e32 v75, v75, v74                                // 000000005798: 2696954B
	v_accvgpr_write_b32 a72, v75                               // 00000000579C: D3D94048 1800014B
	v_accvgpr_read_b32 v75, a88                                // 0000000057A4: D3D8404B 18000158
	v_cndmask_b32_e32 v75, 0, v75, vcc                         // 0000000057AC: 00969680
	v_and_b32_e32 v75, v75, v74                                // 0000000057B0: 2696954B
	v_accvgpr_write_b32 a88, v75                               // 0000000057B4: D3D94058 1800014B
	s_mov_b32 s54, 0x84                                        // 0000000057BC: BEB600FF 00000084
	v_add_i32 v73, s54, v72                                    // 0000000057C4: D29C0049 00029036
	v_cmp_lt_i32_e64 vcc, v73, 4                               // 0000000057CC: D0C1006A 00010949
	v_min_u32_e32 v73, 4, v73                                  // 0000000057D4: 1C929284
	v_lshlrev_b32_e32 v73, 3, v73                              // 0000000057D8: 24929283
	v_lshrrev_b32_e64 v74, v73, -1                             // 0000000057DC: D110004A 00018349
	v_accvgpr_read_b32 v75, a73                                // 0000000057E4: D3D8404B 18000149
	v_cndmask_b32_e32 v75, 0, v75, vcc                         // 0000000057EC: 00969680
	v_and_b32_e32 v75, v75, v74                                // 0000000057F0: 2696954B
	v_accvgpr_write_b32 a73, v75                               // 0000000057F4: D3D94049 1800014B
	v_accvgpr_read_b32 v75, a89                                // 0000000057FC: D3D8404B 18000159
	v_cndmask_b32_e32 v75, 0, v75, vcc                         // 000000005804: 00969680
	v_and_b32_e32 v75, v75, v74                                // 000000005808: 2696954B
	v_accvgpr_write_b32 a89, v75                               // 00000000580C: D3D94059 1800014B
	s_mov_b32 s54, 0x88                                        // 000000005814: BEB600FF 00000088
	v_add_i32 v73, s54, v72                                    // 00000000581C: D29C0049 00029036
	v_cmp_lt_i32_e64 vcc, v73, 4                               // 000000005824: D0C1006A 00010949
	v_min_u32_e32 v73, 4, v73                                  // 00000000582C: 1C929284
	v_lshlrev_b32_e32 v73, 3, v73                              // 000000005830: 24929283
	v_lshrrev_b32_e64 v74, v73, -1                             // 000000005834: D110004A 00018349
	v_accvgpr_read_b32 v75, a74                                // 00000000583C: D3D8404B 1800014A
	v_cndmask_b32_e32 v75, 0, v75, vcc                         // 000000005844: 00969680
	v_and_b32_e32 v75, v75, v74                                // 000000005848: 2696954B
	v_accvgpr_write_b32 a74, v75                               // 00000000584C: D3D9404A 1800014B
	v_accvgpr_read_b32 v75, a90                                // 000000005854: D3D8404B 1800015A
	v_cndmask_b32_e32 v75, 0, v75, vcc                         // 00000000585C: 00969680
	v_and_b32_e32 v75, v75, v74                                // 000000005860: 2696954B
	v_accvgpr_write_b32 a90, v75                               // 000000005864: D3D9405A 1800014B
	s_mov_b32 s54, 0x8c                                        // 00000000586C: BEB600FF 0000008C
	v_add_i32 v73, s54, v72                                    // 000000005874: D29C0049 00029036
	v_cmp_lt_i32_e64 vcc, v73, 4                               // 00000000587C: D0C1006A 00010949
	v_min_u32_e32 v73, 4, v73                                  // 000000005884: 1C929284
	v_lshlrev_b32_e32 v73, 3, v73                              // 000000005888: 24929283
	v_lshrrev_b32_e64 v74, v73, -1                             // 00000000588C: D110004A 00018349
	v_accvgpr_read_b32 v75, a75                                // 000000005894: D3D8404B 1800014B
	v_cndmask_b32_e32 v75, 0, v75, vcc                         // 00000000589C: 00969680
	v_and_b32_e32 v75, v75, v74                                // 0000000058A0: 2696954B
	v_accvgpr_write_b32 a75, v75                               // 0000000058A4: D3D9404B 1800014B
	v_accvgpr_read_b32 v75, a91                                // 0000000058AC: D3D8404B 1800015B
	v_cndmask_b32_e32 v75, 0, v75, vcc                         // 0000000058B4: 00969680
	v_and_b32_e32 v75, v75, v74                                // 0000000058B8: 2696954B
	v_accvgpr_write_b32 a91, v75                               // 0000000058BC: D3D9405B 1800014B
	s_mov_b32 s54, 0xc0                                        // 0000000058C4: BEB600FF 000000C0
	v_add_i32 v73, s54, v72                                    // 0000000058CC: D29C0049 00029036
	v_cmp_lt_i32_e64 vcc, v73, 4                               // 0000000058D4: D0C1006A 00010949
	v_min_u32_e32 v73, 4, v73                                  // 0000000058DC: 1C929284
	v_lshlrev_b32_e32 v73, 3, v73                              // 0000000058E0: 24929283
	v_lshrrev_b32_e64 v74, v73, -1                             // 0000000058E4: D110004A 00018349
	v_accvgpr_read_b32 v75, a76                                // 0000000058EC: D3D8404B 1800014C
	v_cndmask_b32_e32 v75, 0, v75, vcc                         // 0000000058F4: 00969680
	v_and_b32_e32 v75, v75, v74                                // 0000000058F8: 2696954B
	v_accvgpr_write_b32 a76, v75                               // 0000000058FC: D3D9404C 1800014B
	v_accvgpr_read_b32 v75, a92                                // 000000005904: D3D8404B 1800015C
	v_cndmask_b32_e32 v75, 0, v75, vcc                         // 00000000590C: 00969680
	v_and_b32_e32 v75, v75, v74                                // 000000005910: 2696954B
	v_accvgpr_write_b32 a92, v75                               // 000000005914: D3D9405C 1800014B
	s_mov_b32 s54, 0xc4                                        // 00000000591C: BEB600FF 000000C4
	v_add_i32 v73, s54, v72                                    // 000000005924: D29C0049 00029036
	v_cmp_lt_i32_e64 vcc, v73, 4                               // 00000000592C: D0C1006A 00010949
	v_min_u32_e32 v73, 4, v73                                  // 000000005934: 1C929284
	v_lshlrev_b32_e32 v73, 3, v73                              // 000000005938: 24929283
	v_lshrrev_b32_e64 v74, v73, -1                             // 00000000593C: D110004A 00018349
	v_accvgpr_read_b32 v75, a77                                // 000000005944: D3D8404B 1800014D
	v_cndmask_b32_e32 v75, 0, v75, vcc                         // 00000000594C: 00969680
	v_and_b32_e32 v75, v75, v74                                // 000000005950: 2696954B
	v_accvgpr_write_b32 a77, v75                               // 000000005954: D3D9404D 1800014B
	v_accvgpr_read_b32 v75, a93                                // 00000000595C: D3D8404B 1800015D
	v_cndmask_b32_e32 v75, 0, v75, vcc                         // 000000005964: 00969680
	v_and_b32_e32 v75, v75, v74                                // 000000005968: 2696954B
	v_accvgpr_write_b32 a93, v75                               // 00000000596C: D3D9405D 1800014B
	s_mov_b32 s54, 0xc8                                        // 000000005974: BEB600FF 000000C8
	v_add_i32 v73, s54, v72                                    // 00000000597C: D29C0049 00029036
	v_cmp_lt_i32_e64 vcc, v73, 4                               // 000000005984: D0C1006A 00010949
	v_min_u32_e32 v73, 4, v73                                  // 00000000598C: 1C929284
	v_lshlrev_b32_e32 v73, 3, v73                              // 000000005990: 24929283
	v_lshrrev_b32_e64 v74, v73, -1                             // 000000005994: D110004A 00018349
	v_accvgpr_read_b32 v75, a78                                // 00000000599C: D3D8404B 1800014E
	v_cndmask_b32_e32 v75, 0, v75, vcc                         // 0000000059A4: 00969680
	v_and_b32_e32 v75, v75, v74                                // 0000000059A8: 2696954B
	v_accvgpr_write_b32 a78, v75                               // 0000000059AC: D3D9404E 1800014B
	v_accvgpr_read_b32 v75, a94                                // 0000000059B4: D3D8404B 1800015E
	v_cndmask_b32_e32 v75, 0, v75, vcc                         // 0000000059BC: 00969680
	v_and_b32_e32 v75, v75, v74                                // 0000000059C0: 2696954B
	v_accvgpr_write_b32 a94, v75                               // 0000000059C4: D3D9405E 1800014B
	s_mov_b32 s54, 0xcc                                        // 0000000059CC: BEB600FF 000000CC
	v_add_i32 v73, s54, v72                                    // 0000000059D4: D29C0049 00029036
	v_cmp_lt_i32_e64 vcc, v73, 4                               // 0000000059DC: D0C1006A 00010949
	v_min_u32_e32 v73, 4, v73                                  // 0000000059E4: 1C929284
	v_lshlrev_b32_e32 v73, 3, v73                              // 0000000059E8: 24929283
	v_lshrrev_b32_e64 v74, v73, -1                             // 0000000059EC: D110004A 00018349
	v_accvgpr_read_b32 v75, a79                                // 0000000059F4: D3D8404B 1800014F
	v_cndmask_b32_e32 v75, 0, v75, vcc                         // 0000000059FC: 00969680
	v_and_b32_e32 v75, v75, v74                                // 000000005A00: 2696954B
	v_accvgpr_write_b32 a79, v75                               // 000000005A04: D3D9404F 1800014B
	v_accvgpr_read_b32 v75, a95                                // 000000005A0C: D3D8404B 1800015F
	v_cndmask_b32_e32 v75, 0, v75, vcc                         // 000000005A14: 00969680
	v_and_b32_e32 v75, v75, v74                                // 000000005A18: 2696954B
	v_accvgpr_write_b32 a95, v75                               // 000000005A1C: D3D9405F 1800014B
	s_waitcnt lgkmcnt(3)                                       // 000000005A24: BF8CC37F
	v_mfma_f32_16x16x32_fp8_fp8 v[48:51], a[64:65], v[16:17], 0// 000000005A28: D3F30030 0A022140
	v_mfma_f32_16x16x32_fp8_fp8 v[52:55], a[80:81], v[16:17], 0// 000000005A30: D3F30034 0A022150
	v_mfma_f32_16x16x32_fp8_fp8 v[48:51], a[66:67], v[18:19], v[48:51]// 000000005A38: D3F30030 0CC22542
	buffer_load_dwordx4 a[112:115], v112, s[16:19], 0 offen offset:1024// 000000005A40: E05C1400 80847070
	v_mfma_f32_16x16x32_fp8_fp8 v[52:55], a[82:83], v[18:19], v[52:55]// 000000005A48: D3F30034 0CD22552
	s_waitcnt lgkmcnt(2)                                       // 000000005A50: BF8CC27F
	v_mfma_f32_16x16x32_fp8_fp8 v[48:51], a[68:69], v[20:21], v[48:51]// 000000005A54: D3F30030 0CC22944
	v_mfma_f32_16x16x32_fp8_fp8 v[52:55], a[84:85], v[20:21], v[52:55]// 000000005A5C: D3F30034 0CD22954
	v_mfma_f32_16x16x32_fp8_fp8 v[48:51], a[70:71], v[22:23], v[48:51]// 000000005A64: D3F30030 0CC22D46
	buffer_load_dwordx4 a[116:119], v113, s[16:19], 0 offen offset:1024// 000000005A6C: E05C1400 80847471
	v_mfma_f32_16x16x32_fp8_fp8 v[52:55], a[86:87], v[22:23], v[52:55]// 000000005A74: D3F30034 0CD22D56
	s_waitcnt lgkmcnt(1)                                       // 000000005A7C: BF8CC17F
	v_mfma_f32_16x16x32_fp8_fp8 v[48:51], a[72:73], v[24:25], v[48:51]// 000000005A80: D3F30030 0CC23148
	v_mfma_f32_16x16x32_fp8_fp8 v[52:55], a[88:89], v[24:25], v[52:55]// 000000005A88: D3F30034 0CD23158
	v_mfma_f32_16x16x32_fp8_fp8 v[48:51], a[74:75], v[26:27], v[48:51]// 000000005A90: D3F30030 0CC2354A
	buffer_load_dwordx4 a[120:123], v114, s[16:19], 0 offen offset:1024// 000000005A98: E05C1400 80847872
	v_mfma_f32_16x16x32_fp8_fp8 v[52:55], a[90:91], v[26:27], v[52:55]// 000000005AA0: D3F30034 0CD2355A
	s_waitcnt lgkmcnt(0)                                       // 000000005AA8: BF8CC07F
	v_mfma_f32_16x16x32_fp8_fp8 v[48:51], a[76:77], v[28:29], v[48:51]// 000000005AAC: D3F30030 0CC2394C
	v_mfma_f32_16x16x32_fp8_fp8 v[52:55], a[92:93], v[28:29], v[52:55]// 000000005AB4: D3F30034 0CD2395C
	v_mfma_f32_16x16x32_fp8_fp8 v[48:51], a[78:79], v[30:31], v[48:51]// 000000005ABC: D3F30030 0CC23D4E
	buffer_load_dwordx4 a[124:127], v115, s[16:19], 0 offen offset:1024// 000000005AC4: E05C1400 80847C73
	v_mfma_f32_16x16x32_fp8_fp8 v[52:55], a[94:95], v[30:31], v[52:55]// 000000005ACC: D3F30034 0CD23D5E
	s_addk_i32 s64, 0x100                                      // 000000005AD4: B7400100
	s_branch label_0D37                                        // 000000005AD8: BF820000

0000000000005adc <label_0D37>:
	s_cmp_lt_i32 s64, s62                                      // 000000005ADC: BF043E40
	s_cbranch_scc0 label_10F7                                  // 000000005AE0: BF8403BE
	s_waitcnt vmcnt(10)                                        // 000000005AE4: BF8C0F7A
	s_lshl_b32 s68, s76, 2                                     // 000000005AE8: 8E44824C
	s_cmp_lt_u32 s76, s77                                      // 000000005AEC: BF0A4D4C
	s_cselect_b32 s68, s68, 0                                  // 000000005AF0: 85448044
	s_addk_i32 s76, 0x1                                        // 000000005AF4: B74C0001
	s_load_dword s59, s[42:43], s68                            // 000000005AF8: C0000ED5 00000044
	s_waitcnt lgkmcnt(0)                                       // 000000005B00: BF8CC07F
	s_mul_i32 s69, s59, s50                                    // 000000005B04: 9245323B
	s_mul_i32 s71, s59, s66                                    // 000000005B08: 9247423B
	s_mul_i32 s54, s78, s51                                    // 000000005B0C: 9236334E
	s_add_u32 s69, s69, s54                                    // 000000005B10: 80453645
	s_mov_b32 s70, s69                                         // 000000005B14: BEC60045
	s_mul_i32 s54, s78, 4                                      // 000000005B18: 9236844E
	s_add_u32 s71, s71, s54                                    // 000000005B1C: 80473647
	s_add_u32 s12, s86, s69                                    // 000000005B20: 800C4556
	s_addc_u32 s13, s87, 0                                     // 000000005B24: 820D8057
	s_add_u32 s16, s88, s70                                    // 000000005B28: 80104658
	s_addc_u32 s17, s89, 0                                     // 000000005B2C: 82118059
	s_add_u32 s20, s90, s71                                    // 000000005B30: 8014475A
	s_addc_u32 s21, s91, 0                                     // 000000005B34: 8215805B
	s_add_u32 s24, s92, s71                                    // 000000005B38: 8018475C
	s_addc_u32 s25, s93, 0                                     // 000000005B3C: 8219805D
	v_mfma_f32_16x16x32_fp8_fp8 v[16:19], a[32:33], v[8:9], 0  // 000000005B40: D3F30010 0A021120
	v_mfma_f32_16x16x32_fp8_fp8 v[16:19], a[34:35], v[10:11], v[16:19]// 000000005B48: D3F30010 0C421522
	v_mfma_f32_16x16x32_fp8_fp8 v[16:19], a[36:37], v[12:13], v[16:19]// 000000005B50: D3F30010 0C421924
	buffer_load_dwordx4 a[0:3], v110, s[12:15], 0 offen        // 000000005B58: E05C1000 8083006E
	v_mfma_f32_16x16x32_fp8_fp8 v[16:19], a[38:39], v[14:15], v[16:19]// 000000005B60: D3F30010 0C421D26
	v_mfma_f32_16x16x32_fp8_fp8 v[20:23], a[40:41], v[8:9], 0  // 000000005B68: D3F30014 0A021128
	v_mfma_f32_16x16x32_fp8_fp8 v[20:23], a[42:43], v[10:11], v[20:23]// 000000005B70: D3F30014 0C52152A
	v_mfma_f32_16x16x32_fp8_fp8 v[20:23], a[44:45], v[12:13], v[20:23]// 000000005B78: D3F30014 0C52192C
	buffer_load_dwordx4 a[4:7], v111, s[12:15], 0 offen        // 000000005B80: E05C1000 8083046F
	v_mfma_f32_16x16x32_fp8_fp8 v[20:23], a[46:47], v[14:15], v[20:23]// 000000005B88: D3F30014 0C521D2E
	v_mfma_f32_16x16x32_fp8_fp8 v[24:27], a[48:49], v[8:9], 0  // 000000005B90: D3F30018 0A021130
	v_mfma_f32_16x16x32_fp8_fp8 v[24:27], a[50:51], v[10:11], v[24:27]// 000000005B98: D3F30018 0C621532
	v_mfma_f32_16x16x32_fp8_fp8 v[24:27], a[52:53], v[12:13], v[24:27]// 000000005BA0: D3F30018 0C621934
	buffer_load_dwordx4 a[8:11], v110, s[12:15], 0 offen offset:1024// 000000005BA8: E05C1400 8083086E
	v_mfma_f32_16x16x32_fp8_fp8 v[24:27], a[54:55], v[14:15], v[24:27]// 000000005BB0: D3F30018 0C621D36
	v_mfma_f32_16x16x32_fp8_fp8 v[28:31], a[56:57], v[8:9], 0  // 000000005BB8: D3F3001C 0A021138
	v_mfma_f32_16x16x32_fp8_fp8 v[28:31], a[58:59], v[10:11], v[28:31]// 000000005BC0: D3F3001C 0C72153A
	v_mfma_f32_16x16x32_fp8_fp8 v[28:31], a[60:61], v[12:13], v[28:31]// 000000005BC8: D3F3001C 0C72193C
	buffer_load_dwordx4 a[12:15], v111, s[12:15], 0 offen offset:1024// 000000005BD0: E05C1400 80830C6F
	v_mfma_f32_16x16x32_fp8_fp8 v[28:31], a[62:63], v[14:15], v[28:31]// 000000005BD8: D3F3001C 0C721D3E
	s_waitcnt vmcnt(12)                                        // 000000005BE0: BF8C0F7C
	v_pk_mul_f32 v[16:17], v[64:65], v[16:17]                  // 000000005BE4: D3B14010 18022140
	v_pk_mul_f32 v[18:19], v[64:65], v[18:19]                  // 000000005BEC: D3B14012 18022540
	v_mul_f32_dpp v16, v67, v16 row_newbcast:0 row_mask:0xf bank_mask:0xf// 000000005BF4: 0A2020FA FF015043
	v_mul_f32_dpp v17, v67, v17 row_newbcast:1 row_mask:0xf bank_mask:0xf// 000000005BFC: 0A2222FA FF015143
	v_mul_f32_dpp v18, v67, v18 row_newbcast:2 row_mask:0xf bank_mask:0xf// 000000005C04: 0A2424FA FF015243
	v_mul_f32_dpp v19, v67, v19 row_newbcast:3 row_mask:0xf bank_mask:0xf// 000000005C0C: 0A2626FA FF015343
	v_pk_mul_f32 v[20:21], v[64:65], v[20:21]                  // 000000005C14: D3B14014 18022940
	v_pk_mul_f32 v[22:23], v[64:65], v[22:23]                  // 000000005C1C: D3B14016 18022D40
	v_mul_f32_dpp v20, v67, v20 row_newbcast:4 row_mask:0xf bank_mask:0xf// 000000005C24: 0A2828FA FF015443
	v_mul_f32_dpp v21, v67, v21 row_newbcast:5 row_mask:0xf bank_mask:0xf// 000000005C2C: 0A2A2AFA FF015543
	v_mul_f32_dpp v22, v67, v22 row_newbcast:6 row_mask:0xf bank_mask:0xf// 000000005C34: 0A2C2CFA FF015643
	v_mul_f32_dpp v23, v67, v23 row_newbcast:7 row_mask:0xf bank_mask:0xf// 000000005C3C: 0A2E2EFA FF015743
	v_pk_mul_f32 v[24:25], v[64:65], v[24:25]                  // 000000005C44: D3B14018 18023140
	v_pk_mul_f32 v[26:27], v[64:65], v[26:27]                  // 000000005C4C: D3B1401A 18023540
	v_mul_f32_dpp v24, v67, v24 row_newbcast:8 row_mask:0xf bank_mask:0xf// 000000005C54: 0A3030FA FF015843
	v_mul_f32_dpp v25, v67, v25 row_newbcast:9 row_mask:0xf bank_mask:0xf// 000000005C5C: 0A3232FA FF015943
	v_mul_f32_dpp v26, v67, v26 row_newbcast:10 row_mask:0xf bank_mask:0xf// 000000005C64: 0A3434FA FF015A43
	v_mul_f32_dpp v27, v67, v27 row_newbcast:11 row_mask:0xf bank_mask:0xf// 000000005C6C: 0A3636FA FF015B43
	v_pk_mul_f32 v[28:29], v[64:65], v[28:29]                  // 000000005C74: D3B1401C 18023940
	v_pk_mul_f32 v[30:31], v[64:65], v[30:31]                  // 000000005C7C: D3B1401E 18023D40
	v_mul_f32_dpp v28, v67, v28 row_newbcast:12 row_mask:0xf bank_mask:0xf// 000000005C84: 0A3838FA FF015C43
	v_mul_f32_dpp v29, v67, v29 row_newbcast:13 row_mask:0xf bank_mask:0xf// 000000005C8C: 0A3A3AFA FF015D43
	v_mul_f32_dpp v30, v67, v30 row_newbcast:14 row_mask:0xf bank_mask:0xf// 000000005C94: 0A3C3CFA FF015E43
	v_mul_f32_dpp v31, v67, v31 row_newbcast:15 row_mask:0xf bank_mask:0xf// 000000005C9C: 0A3E3EFA FF015F43
	buffer_load_dwordx4 a[16:19], v110, s[12:15], 0 offen offset:2048// 000000005CA4: E05C1800 8083106E
	v_add_u32_e32 v72, s64, v106                               // 000000005CAC: 6890D440
	v_add_u32_e32 v73, 0, v72                                  // 000000005CB0: 68929080
	v_cmp_lt_u32_e64 s[98:99], v73, v105                       // 000000005CB4: D0C90062 0002D349
	s_nop 0                                                    // 000000005CBC: BF800000
	v_cndmask_b32_e64 v16, v107, v16, s[98:99]                 // 000000005CC0: D1000010 018A216B
	v_add_u32_e32 v73, 1, v72                                  // 000000005CC8: 68929081
	v_cmp_lt_u32_e64 s[98:99], v73, v105                       // 000000005CCC: D0C90062 0002D349
	s_nop 0                                                    // 000000005CD4: BF800000
	v_cndmask_b32_e64 v17, v107, v17, s[98:99]                 // 000000005CD8: D1000011 018A236B
	v_add_u32_e32 v73, 2, v72                                  // 000000005CE0: 68929082
	v_cmp_lt_u32_e64 s[98:99], v73, v105                       // 000000005CE4: D0C90062 0002D349
	s_nop 0                                                    // 000000005CEC: BF800000
	v_cndmask_b32_e64 v18, v107, v18, s[98:99]                 // 000000005CF0: D1000012 018A256B
	v_add_u32_e32 v73, 3, v72                                  // 000000005CF8: 68929083
	v_cmp_lt_u32_e64 s[98:99], v73, v105                       // 000000005CFC: D0C90062 0002D349
	s_nop 0                                                    // 000000005D04: BF800000
	v_cndmask_b32_e64 v19, v107, v19, s[98:99]                 // 000000005D08: D1000013 018A276B
	v_add_u32_e32 v73, 64, v72                                 // 000000005D10: 689290C0
	v_cmp_lt_u32_e64 s[98:99], v73, v105                       // 000000005D14: D0C90062 0002D349
	s_nop 0                                                    // 000000005D1C: BF800000
	v_cndmask_b32_e64 v20, v107, v20, s[98:99]                 // 000000005D20: D1000014 018A296B
	v_add_u32_e32 v73, 0x41, v72                               // 000000005D28: 689290FF 00000041
	v_cmp_lt_u32_e64 s[98:99], v73, v105                       // 000000005D30: D0C90062 0002D349
	s_nop 0                                                    // 000000005D38: BF800000
	v_cndmask_b32_e64 v21, v107, v21, s[98:99]                 // 000000005D3C: D1000015 018A2B6B
	v_add_u32_e32 v73, 0x42, v72                               // 000000005D44: 689290FF 00000042
	v_cmp_lt_u32_e64 s[98:99], v73, v105                       // 000000005D4C: D0C90062 0002D349
	s_nop 0                                                    // 000000005D54: BF800000
	v_cndmask_b32_e64 v22, v107, v22, s[98:99]                 // 000000005D58: D1000016 018A2D6B
	v_add_u32_e32 v73, 0x43, v72                               // 000000005D60: 689290FF 00000043
	v_cmp_lt_u32_e64 s[98:99], v73, v105                       // 000000005D68: D0C90062 0002D349
	s_nop 0                                                    // 000000005D70: BF800000
	v_cndmask_b32_e64 v23, v107, v23, s[98:99]                 // 000000005D74: D1000017 018A2F6B
	v_add_u32_e32 v73, 0x80, v72                               // 000000005D7C: 689290FF 00000080
	v_cmp_lt_u32_e64 s[98:99], v73, v105                       // 000000005D84: D0C90062 0002D349
	s_nop 0                                                    // 000000005D8C: BF800000
	v_cndmask_b32_e64 v24, v107, v24, s[98:99]                 // 000000005D90: D1000018 018A316B
	v_add_u32_e32 v73, 0x81, v72                               // 000000005D98: 689290FF 00000081
	v_cmp_lt_u32_e64 s[98:99], v73, v105                       // 000000005DA0: D0C90062 0002D349
	s_nop 0                                                    // 000000005DA8: BF800000
	v_cndmask_b32_e64 v25, v107, v25, s[98:99]                 // 000000005DAC: D1000019 018A336B
	v_add_u32_e32 v73, 0x82, v72                               // 000000005DB4: 689290FF 00000082
	v_cmp_lt_u32_e64 s[98:99], v73, v105                       // 000000005DBC: D0C90062 0002D349
	s_nop 0                                                    // 000000005DC4: BF800000
	v_cndmask_b32_e64 v26, v107, v26, s[98:99]                 // 000000005DC8: D100001A 018A356B
	v_add_u32_e32 v73, 0x83, v72                               // 000000005DD0: 689290FF 00000083
	v_cmp_lt_u32_e64 s[98:99], v73, v105                       // 000000005DD8: D0C90062 0002D349
	s_nop 0                                                    // 000000005DE0: BF800000
	v_cndmask_b32_e64 v27, v107, v27, s[98:99]                 // 000000005DE4: D100001B 018A376B
	v_add_u32_e32 v73, 0xc0, v72                               // 000000005DEC: 689290FF 000000C0
	v_cmp_lt_u32_e64 s[98:99], v73, v105                       // 000000005DF4: D0C90062 0002D349
	s_nop 0                                                    // 000000005DFC: BF800000
	v_cndmask_b32_e64 v28, v107, v28, s[98:99]                 // 000000005E00: D100001C 018A396B
	v_add_u32_e32 v73, 0xc1, v72                               // 000000005E08: 689290FF 000000C1
	v_cmp_lt_u32_e64 s[98:99], v73, v105                       // 000000005E10: D0C90062 0002D349
	s_nop 0                                                    // 000000005E18: BF800000
	v_cndmask_b32_e64 v29, v107, v29, s[98:99]                 // 000000005E1C: D100001D 018A3B6B
	v_add_u32_e32 v73, 0xc2, v72                               // 000000005E24: 689290FF 000000C2
	v_cmp_lt_u32_e64 s[98:99], v73, v105                       // 000000005E2C: D0C90062 0002D349
	s_nop 0                                                    // 000000005E34: BF800000
	v_cndmask_b32_e64 v30, v107, v30, s[98:99]                 // 000000005E38: D100001E 018A3D6B
	v_add_u32_e32 v73, 0xc3, v72                               // 000000005E40: 689290FF 000000C3
	v_cmp_lt_u32_e64 s[98:99], v73, v105                       // 000000005E48: D0C90062 0002D349
	s_nop 0                                                    // 000000005E50: BF800000
	v_cndmask_b32_e64 v31, v107, v31, s[98:99]                 // 000000005E54: D100001F 018A3F6B
	v_mov_b32_e32 v92, v16                                     // 000000005E5C: 7EB80310
	v_max3_f32 v92, v16, v17, v92                              // 000000005E60: D1D3005C 05722310
	v_max3_f32 v92, v18, v19, v92                              // 000000005E68: D1D3005C 05722712
	v_max3_f32 v92, v20, v21, v92                              // 000000005E70: D1D3005C 05722B14
	v_max3_f32 v92, v22, v23, v92                              // 000000005E78: D1D3005C 05722F16
	v_max3_f32 v92, v24, v25, v92                              // 000000005E80: D1D3005C 05723318
	v_max3_f32 v92, v26, v27, v92                              // 000000005E88: D1D3005C 0572371A
	v_max3_f32 v92, v28, v29, v92                              // 000000005E90: D1D3005C 05723B1C
	v_max3_f32 v92, v30, v31, v92                              // 000000005E98: D1D3005C 05723F1E
	ds_write_b32 v128, v92                                     // 000000005EA0: D81A0000 00005C80
	v_pk_mul_f32 v[56:57], v[94:95], v[56:57]                  // 000000005EA8: D3B14038 1802715E
	v_pk_mul_f32 v[58:59], v[94:95], v[58:59]                  // 000000005EB0: D3B1403A 1802755E
	v_pk_mul_f32 v[60:61], v[94:95], v[60:61]                  // 000000005EB8: D3B1403C 1802795E
	v_pk_mul_f32 v[62:63], v[94:95], v[62:63]                  // 000000005EC0: D3B1403E 18027D5E
	buffer_load_dwordx4 a[20:23], v111, s[12:15], 0 offen offset:2048// 000000005EC8: E05C1800 8083146F
	s_waitcnt lgkmcnt(0)                                       // 000000005ED0: BF8CC07F
	s_barrier                                                  // 000000005ED4: BF8A0000
	ds_read_b32 v76, v129                                      // 000000005ED8: D86C0000 4C000081
	ds_read_b32 v77, v129 offset:64                            // 000000005EE0: D86C0040 4D000081
	ds_read_b32 v78, v129 offset:128                           // 000000005EE8: D86C0080 4E000081
	ds_read_b32 v79, v129 offset:192                           // 000000005EF0: D86C00C0 4F000081
	ds_read_b32 v80, v129 offset:256                           // 000000005EF8: D86C0100 50000081
	ds_read_b32 v81, v129 offset:320                           // 000000005F00: D86C0140 51000081
	ds_read_b32 v82, v129 offset:384                           // 000000005F08: D86C0180 52000081
	ds_read_b32 v83, v129 offset:448                           // 000000005F10: D86C01C0 53000081
	ds_read_b32 v84, v129 offset:512                           // 000000005F18: D86C0200 54000081
	ds_read_b32 v85, v129 offset:576                           // 000000005F20: D86C0240 55000081
	ds_read_b32 v86, v129 offset:640                           // 000000005F28: D86C0280 56000081
	ds_read_b32 v87, v129 offset:704                           // 000000005F30: D86C02C0 57000081
	ds_read_b32 v88, v129 offset:768                           // 000000005F38: D86C0300 58000081
	ds_read_b32 v89, v129 offset:832                           // 000000005F40: D86C0340 59000081
	ds_read_b32 v90, v129 offset:896                           // 000000005F48: D86C0380 5A000081
	ds_read_b32 v91, v129 offset:960                           // 000000005F50: D86C03C0 5B000081
	buffer_load_dwordx4 a[28:31], v111, s[12:15], 0 offen offset:3072// 000000005F58: E05C1C00 80831C6F
	v_pk_mul_f32 v[48:49], v[70:71], v[48:49]                  // 000000005F60: D3B14030 18026146
	v_pk_mul_f32 v[50:51], v[70:71], v[50:51]                  // 000000005F68: D3B14032 18026546
	v_pk_mul_f32 v[52:53], v[70:71], v[52:53]                  // 000000005F70: D3B14034 18026946
	v_pk_mul_f32 v[54:55], v[70:71], v[54:55]                  // 000000005F78: D3B14036 18026D46
	buffer_load_dwordx4 a[24:27], v110, s[12:15], 0 offen offset:3072// 000000005F80: E05C1C00 8083186E
	s_waitcnt lgkmcnt(0)                                       // 000000005F88: BF8CC07F
	v_max3_f32 v92, v76, v77, v92                              // 000000005F8C: D1D3005C 05729B4C
	v_max3_f32 v92, v78, v79, v92                              // 000000005F94: D1D3005C 05729F4E
	v_max3_f32 v92, v80, v81, v92                              // 000000005F9C: D1D3005C 0572A350
	v_max3_f32 v92, v82, v83, v92                              // 000000005FA4: D1D3005C 0572A752
	v_max3_f32 v92, v84, v85, v92                              // 000000005FAC: D1D3005C 0572AB54
	v_max3_f32 v92, v86, v87, v92                              // 000000005FB4: D1D3005C 0572AF56
	v_max3_f32 v92, v88, v89, v92                              // 000000005FBC: D1D3005C 0572B358
	v_max3_f32 v92, v90, v91, v92                              // 000000005FC4: D1D3005C 0572B75A
	v_max_f32_e32 v97, v92, v96                                // 000000005FCC: 16C2C15C
	v_mul_f32_e64 v72, -s46, v97                               // 000000005FD0: D1050048 2002C22E
	v_mov_b32_e32 v73, v72                                     // 000000005FD8: 7E920348
	v_pk_fma_f32 v[16:17], v[16:17], s[46:47], v[72:73]        // 000000005FDC: D3B04010 1D205D10
	v_pk_fma_f32 v[18:19], v[18:19], s[46:47], v[72:73]        // 000000005FE4: D3B04012 1D205D12
	v_exp_f32_e32 v16, v16                                     // 000000005FEC: 7E204110
	v_exp_f32_e32 v17, v17                                     // 000000005FF0: 7E224111
	v_exp_f32_e32 v18, v18                                     // 000000005FF4: 7E244112
	v_exp_f32_e32 v19, v19                                     // 000000005FF8: 7E264113
	v_pk_fma_f32 v[20:21], v[20:21], s[46:47], v[72:73]        // 000000005FFC: D3B04014 1D205D14
	v_pk_fma_f32 v[22:23], v[22:23], s[46:47], v[72:73]        // 000000006004: D3B04016 1D205D16
	v_exp_f32_e32 v20, v20                                     // 00000000600C: 7E284114
	v_exp_f32_e32 v21, v21                                     // 000000006010: 7E2A4115
	v_exp_f32_e32 v22, v22                                     // 000000006014: 7E2C4116
	v_exp_f32_e32 v23, v23                                     // 000000006018: 7E2E4117
	v_pk_fma_f32 v[24:25], v[24:25], s[46:47], v[72:73]        // 00000000601C: D3B04018 1D205D18
	v_pk_fma_f32 v[26:27], v[26:27], s[46:47], v[72:73]        // 000000006024: D3B0401A 1D205D1A
	v_exp_f32_e32 v24, v24                                     // 00000000602C: 7E304118
	v_exp_f32_e32 v25, v25                                     // 000000006030: 7E324119
	v_exp_f32_e32 v26, v26                                     // 000000006034: 7E34411A
	v_exp_f32_e32 v27, v27                                     // 000000006038: 7E36411B
	v_pk_fma_f32 v[28:29], v[28:29], s[46:47], v[72:73]        // 00000000603C: D3B0401C 1D205D1C
	v_pk_fma_f32 v[30:31], v[30:31], s[46:47], v[72:73]        // 000000006044: D3B0401E 1D205D1E
	v_exp_f32_e32 v28, v28                                     // 00000000604C: 7E38411C
	v_exp_f32_e32 v29, v29                                     // 000000006050: 7E3A411D
	v_exp_f32_e32 v30, v30                                     // 000000006054: 7E3C411E
	v_exp_f32_e32 v31, v31                                     // 000000006058: 7E3E411F
	v_mul_f32_dpp v32, v69, v16 row_newbcast:0 row_mask:0xf bank_mask:0xf// 00000000605C: 0A4020FA FF015045
	v_mul_f32_dpp v33, v69, v17 row_newbcast:1 row_mask:0xf bank_mask:0xf// 000000006064: 0A4222FA FF015145
	v_mul_f32_dpp v34, v69, v18 row_newbcast:2 row_mask:0xf bank_mask:0xf// 00000000606C: 0A4424FA FF015245
	v_mul_f32_dpp v35, v69, v19 row_newbcast:3 row_mask:0xf bank_mask:0xf// 000000006074: 0A4626FA FF015345
	v_mul_f32_dpp v36, v69, v20 row_newbcast:4 row_mask:0xf bank_mask:0xf// 00000000607C: 0A4828FA FF015445
	v_mul_f32_dpp v37, v69, v21 row_newbcast:5 row_mask:0xf bank_mask:0xf// 000000006084: 0A4A2AFA FF015545
	v_mul_f32_dpp v38, v69, v22 row_newbcast:6 row_mask:0xf bank_mask:0xf// 00000000608C: 0A4C2CFA FF015645
	v_mul_f32_dpp v39, v69, v23 row_newbcast:7 row_mask:0xf bank_mask:0xf// 000000006094: 0A4E2EFA FF015745
	v_mul_f32_dpp v40, v69, v24 row_newbcast:8 row_mask:0xf bank_mask:0xf// 00000000609C: 0A5030FA FF015845
	v_mul_f32_dpp v41, v69, v25 row_newbcast:9 row_mask:0xf bank_mask:0xf// 0000000060A4: 0A5232FA FF015945
	v_mul_f32_dpp v42, v69, v26 row_newbcast:10 row_mask:0xf bank_mask:0xf// 0000000060AC: 0A5434FA FF015A45
	v_mul_f32_dpp v43, v69, v27 row_newbcast:11 row_mask:0xf bank_mask:0xf// 0000000060B4: 0A5636FA FF015B45
	v_mul_f32_dpp v44, v69, v28 row_newbcast:12 row_mask:0xf bank_mask:0xf// 0000000060BC: 0A5838FA FF015C45
	v_mul_f32_dpp v45, v69, v29 row_newbcast:13 row_mask:0xf bank_mask:0xf// 0000000060C4: 0A5A3AFA FF015D45
	v_mul_f32_dpp v46, v69, v30 row_newbcast:14 row_mask:0xf bank_mask:0xf// 0000000060CC: 0A5C3CFA FF015E45
	v_mul_f32_dpp v47, v69, v31 row_newbcast:15 row_mask:0xf bank_mask:0xf// 0000000060D4: 0A5E3EFA FF015F45
	v_add_u32_e32 v72, s64, v106                               // 0000000060DC: 6890D440
	v_add_u32_e32 v73, 0, v72                                  // 0000000060E0: 68929080
	v_cmp_lt_u32_e32 vcc, v73, v105                            // 0000000060E4: 7D92D349
	v_cndmask_b32_e32 v32, 0, v32, vcc                         // 0000000060E8: 00404080
	v_add_u32_e32 v73, 1, v72                                  // 0000000060EC: 68929081
	v_cmp_lt_u32_e32 vcc, v73, v105                            // 0000000060F0: 7D92D349
	v_cndmask_b32_e32 v33, 0, v33, vcc                         // 0000000060F4: 00424280
	v_add_u32_e32 v73, 2, v72                                  // 0000000060F8: 68929082
	v_cmp_lt_u32_e32 vcc, v73, v105                            // 0000000060FC: 7D92D349
	v_cndmask_b32_e32 v34, 0, v34, vcc                         // 000000006100: 00444480
	v_add_u32_e32 v73, 3, v72                                  // 000000006104: 68929083
	v_cmp_lt_u32_e32 vcc, v73, v105                            // 000000006108: 7D92D349
	v_cndmask_b32_e32 v35, 0, v35, vcc                         // 00000000610C: 00464680
	v_add_u32_e32 v73, 64, v72                                 // 000000006110: 689290C0
	v_cmp_lt_u32_e32 vcc, v73, v105                            // 000000006114: 7D92D349
	v_cndmask_b32_e32 v36, 0, v36, vcc                         // 000000006118: 00484880
	v_add_u32_e32 v73, 0x41, v72                               // 00000000611C: 689290FF 00000041
	v_cmp_lt_u32_e32 vcc, v73, v105                            // 000000006124: 7D92D349
	v_cndmask_b32_e32 v37, 0, v37, vcc                         // 000000006128: 004A4A80
	v_add_u32_e32 v73, 0x42, v72                               // 00000000612C: 689290FF 00000042
	v_cmp_lt_u32_e32 vcc, v73, v105                            // 000000006134: 7D92D349
	v_cndmask_b32_e32 v38, 0, v38, vcc                         // 000000006138: 004C4C80
	v_add_u32_e32 v73, 0x43, v72                               // 00000000613C: 689290FF 00000043
	v_cmp_lt_u32_e32 vcc, v73, v105                            // 000000006144: 7D92D349
	v_cndmask_b32_e32 v39, 0, v39, vcc                         // 000000006148: 004E4E80
	v_add_u32_e32 v73, 0x80, v72                               // 00000000614C: 689290FF 00000080
	v_cmp_lt_u32_e32 vcc, v73, v105                            // 000000006154: 7D92D349
	v_cndmask_b32_e32 v40, 0, v40, vcc                         // 000000006158: 00505080
	v_add_u32_e32 v73, 0x81, v72                               // 00000000615C: 689290FF 00000081
	v_cmp_lt_u32_e32 vcc, v73, v105                            // 000000006164: 7D92D349
	v_cndmask_b32_e32 v41, 0, v41, vcc                         // 000000006168: 00525280
	v_add_u32_e32 v73, 0x82, v72                               // 00000000616C: 689290FF 00000082
	v_cmp_lt_u32_e32 vcc, v73, v105                            // 000000006174: 7D92D349
	v_cndmask_b32_e32 v42, 0, v42, vcc                         // 000000006178: 00545480
	v_add_u32_e32 v73, 0x83, v72                               // 00000000617C: 689290FF 00000083
	v_cmp_lt_u32_e32 vcc, v73, v105                            // 000000006184: 7D92D349
	v_cndmask_b32_e32 v43, 0, v43, vcc                         // 000000006188: 00565680
	v_add_u32_e32 v73, 0xc0, v72                               // 00000000618C: 689290FF 000000C0
	v_cmp_lt_u32_e32 vcc, v73, v105                            // 000000006194: 7D92D349
	v_cndmask_b32_e32 v44, 0, v44, vcc                         // 000000006198: 00585880
	v_add_u32_e32 v73, 0xc1, v72                               // 00000000619C: 689290FF 000000C1
	v_cmp_lt_u32_e32 vcc, v73, v105                            // 0000000061A4: 7D92D349
	v_cndmask_b32_e32 v45, 0, v45, vcc                         // 0000000061A8: 005A5A80
	v_add_u32_e32 v73, 0xc2, v72                               // 0000000061AC: 689290FF 000000C2
	v_cmp_lt_u32_e32 vcc, v73, v105                            // 0000000061B4: 7D92D349
	v_cndmask_b32_e32 v46, 0, v46, vcc                         // 0000000061B8: 005C5C80
	v_add_u32_e32 v73, 0xc3, v72                               // 0000000061BC: 689290FF 000000C3
	v_cmp_lt_u32_e32 vcc, v73, v105                            // 0000000061C4: 7D92D349
	v_cndmask_b32_e32 v47, 0, v47, vcc                         // 0000000061C8: 005E5E80
	buffer_load_dword v66, v116, s[20:23], 0 offen             // 0000000061CC: E0501000 80054274
	v_sub_f32_e32 v94, v96, v97                                // 0000000061D4: 04BCC360
	v_cmp_eq_u32_e64 s[98:99], v107, v96                       // 0000000061D8: D0CA0062 0002C16B
	s_nop 0                                                    // 0000000061E0: BF800000
	v_cndmask_b32_e64 v94, v94, 0, s[98:99]                    // 0000000061E4: D100005E 0189015E
	v_mov_b32_e32 v96, v97                                     // 0000000061EC: 7EC00361
	v_mul_f32_e32 v94, s46, v94                                // 0000000061F0: 0ABCBC2E
	v_exp_f32_e32 v94, v94                                     // 0000000061F4: 7EBC415E
	s_nop 0                                                    // 0000000061F8: BF800000
	v_mov_b32_e32 v95, v94                                     // 0000000061FC: 7EBE035E
	buffer_load_dword v68, v117, s[24:27], 0 offen             // 000000006200: E0501000 80064475
	s_waitcnt lgkmcnt(0)                                       // 000000006208: BF8CC07F
	s_barrier                                                  // 00000000620C: BF8A0000
	buffer_load_dwordx4 a[64:67], v112, s[16:19], 0 offen      // 000000006210: E05C1000 80844070
	v_mul_f32_e32 v98, v94, v98                                // 000000006218: 0AC4C55E
	v_add_f32_e32 v98, v16, v98                                // 00000000621C: 02C4C510
	v_add_f32_e32 v98, v17, v98                                // 000000006220: 02C4C511
	v_add_f32_e32 v98, v18, v98                                // 000000006224: 02C4C512
	v_add_f32_e32 v98, v19, v98                                // 000000006228: 02C4C513
	v_add_f32_e32 v98, v20, v98                                // 00000000622C: 02C4C514
	v_add_f32_e32 v98, v21, v98                                // 000000006230: 02C4C515
	v_add_f32_e32 v98, v22, v98                                // 000000006234: 02C4C516
	v_add_f32_e32 v98, v23, v98                                // 000000006238: 02C4C517
	v_add_f32_e32 v98, v24, v98                                // 00000000623C: 02C4C518
	v_add_f32_e32 v98, v25, v98                                // 000000006240: 02C4C519
	v_add_f32_e32 v98, v26, v98                                // 000000006244: 02C4C51A
	v_add_f32_e32 v98, v27, v98                                // 000000006248: 02C4C51B
	v_add_f32_e32 v98, v28, v98                                // 00000000624C: 02C4C51C
	v_add_f32_e32 v98, v29, v98                                // 000000006250: 02C4C51D
	v_add_f32_e32 v98, v30, v98                                // 000000006254: 02C4C51E
	v_add_f32_e32 v98, v31, v98                                // 000000006258: 02C4C51F
	buffer_load_dwordx4 a[68:71], v113, s[16:19], 0 offen      // 00000000625C: E05C1000 80844471
	s_waitcnt lgkmcnt(0)                                       // 000000006264: BF8CC07F
	v_sub_f32_e32 v92, v92, v96                                // 000000006268: 04B8C15C
	v_mul_f32_e32 v92, s46, v92                                // 00000000626C: 0AB8B82E
	v_exp_f32_e32 v92, v92                                     // 000000006270: 7EB8415C
	s_nop 0                                                    // 000000006274: BF800000
	v_mul_f32_e32 v92, v69, v92                                // 000000006278: 0AB8B945
	v_add_f32_e32 v92, 0x3089705f, v92                         // 00000000627C: 02B8B8FF 3089705F
	v_rcp_f32_e32 v92, v92                                     // 000000006284: 7EB8455C
	s_nop 0                                                    // 000000006288: BF800000
	v_mul_f32_e32 v92, 0x43700000, v92                         // 00000000628C: 0AB8B8FF 43700000
	v_mov_b32_e32 v93, v92                                     // 000000006294: 7EBA035C
	v_pk_mul_f32 v[16:17], v[92:93], v[32:33]                  // 000000006298: D3B14010 1802415C
	v_pk_mul_f32 v[18:19], v[92:93], v[34:35]                  // 0000000062A0: D3B14012 1802455C
	v_pk_mul_f32 v[20:21], v[92:93], v[36:37]                  // 0000000062A8: D3B14014 1802495C
	v_pk_mul_f32 v[22:23], v[92:93], v[38:39]                  // 0000000062B0: D3B14016 18024D5C
	v_pk_mul_f32 v[24:25], v[92:93], v[40:41]                  // 0000000062B8: D3B14018 1802515C
	v_pk_mul_f32 v[26:27], v[92:93], v[42:43]                  // 0000000062C0: D3B1401A 1802555C
	v_pk_mul_f32 v[28:29], v[92:93], v[44:45]                  // 0000000062C8: D3B1401C 1802595C
	v_pk_mul_f32 v[30:31], v[92:93], v[46:47]                  // 0000000062D0: D3B1401E 18025D5C
	v_cvt_pk_fp8_f32 v16, v16, v17                             // 0000000062D8: D2A20010 00022310
	v_cvt_pk_fp8_f32 v16, v18, v19 op_sel:[0,0,1]              // 0000000062E0: D2A24010 00022712
	v_cvt_pk_fp8_f32 v17, v20, v21                             // 0000000062E8: D2A20011 00022B14
	v_cvt_pk_fp8_f32 v17, v22, v23 op_sel:[0,0,1]              // 0000000062F0: D2A24011 00022F16
	v_cvt_pk_fp8_f32 v18, v24, v25                             // 0000000062F8: D2A20012 00023318
	v_cvt_pk_fp8_f32 v18, v26, v27 op_sel:[0,0,1]              // 000000006300: D2A24012 0002371A
	v_cvt_pk_fp8_f32 v19, v28, v29                             // 000000006308: D2A20013 00023B1C
	v_cvt_pk_fp8_f32 v19, v30, v31 op_sel:[0,0,1]              // 000000006310: D2A24013 00023F1E
	ds_write_b32 v130, v16 offset:2560                         // 000000006318: D81A0A00 00001082
	ds_write_b32 v130, v17 offset:3584                         // 000000006320: D81A0E00 00001182
	ds_write_b32 v130, v18 offset:4608                         // 000000006328: D81A1200 00001282
	ds_write_b32 v130, v19 offset:5632                         // 000000006330: D81A1600 00001382
	v_rcp_f32_e32 v70, v92                                     // 000000006338: 7E8C455C
	s_nop 0                                                    // 00000000633C: BF800000
	v_mov_b32_e32 v71, v70                                     // 000000006340: 7E8E0346
	buffer_load_dwordx4 a[72:75], v114, s[16:19], 0 offen      // 000000006344: E05C1000 80844872
	v_pk_add_f32 v[56:57], v[56:57], v[48:49]                  // 00000000634C: D3B24038 18026138
	v_pk_add_f32 v[58:59], v[58:59], v[50:51]                  // 000000006354: D3B2403A 1802653A
	v_pk_add_f32 v[60:61], v[60:61], v[52:53]                  // 00000000635C: D3B2403C 1802693C
	v_pk_add_f32 v[62:63], v[62:63], v[54:55]                  // 000000006364: D3B2403E 18026D3E
	s_waitcnt lgkmcnt(0)                                       // 00000000636C: BF8CC07F
	s_barrier                                                  // 000000006370: BF8A0000
	ds_read_b128 v[16:19], v131 offset:2560                    // 000000006374: D9FE0A00 10000083
	ds_read_b128 v[20:23], v131 offset:3584                    // 00000000637C: D9FE0E00 14000083
	ds_read_b128 v[24:27], v131 offset:4608                    // 000000006384: D9FE1200 18000083
	ds_read_b128 v[28:31], v131 offset:5632                    // 00000000638C: D9FE1600 1C000083
	buffer_load_dwordx4 a[76:79], v115, s[16:19], 0 offen      // 000000006394: E05C1000 80844C73
	s_waitcnt vmcnt(14)                                        // 00000000639C: BF8C0F7E
	v_lshrrev_b32_e32 v100, 4, v0                              // 0000000063A0: 20C80084
	v_lshlrev_b32_e32 v100, 4, v100                            // 0000000063A4: 24C8C884
	v_add_u32_e32 v72, s64, v100                               // 0000000063A8: 6890C840
	v_add_u32_e32 v72, 4, v72                                  // 0000000063AC: 68909084
	v_sub_i32 v72, v72, s62                                    // 0000000063B0: D29D0048 00007D48
	s_mov_b32 s54, 0                                           // 0000000063B8: BEB60080
	v_add_i32 v73, s54, v72                                    // 0000000063BC: D29C0049 00029036
	v_cmp_lt_i32_e64 vcc, v73, 4                               // 0000000063C4: D0C1006A 00010949
	v_min_u32_e32 v73, 4, v73                                  // 0000000063CC: 1C929284
	v_lshlrev_b32_e32 v73, 3, v73                              // 0000000063D0: 24929283
	v_lshrrev_b32_e64 v74, v73, -1                             // 0000000063D4: D110004A 00018349
	v_accvgpr_read_b32 v75, a96                                // 0000000063DC: D3D8404B 18000160
	v_cndmask_b32_e32 v75, 0, v75, vcc                         // 0000000063E4: 00969680
	v_and_b32_e32 v75, v75, v74                                // 0000000063E8: 2696954B
	v_accvgpr_write_b32 a96, v75                               // 0000000063EC: D3D94060 1800014B
	v_accvgpr_read_b32 v75, a112                               // 0000000063F4: D3D8404B 18000170
	v_cndmask_b32_e32 v75, 0, v75, vcc                         // 0000000063FC: 00969680
	v_and_b32_e32 v75, v75, v74                                // 000000006400: 2696954B
	v_accvgpr_write_b32 a112, v75                              // 000000006404: D3D94070 1800014B
	s_mov_b32 s54, 4                                           // 00000000640C: BEB60084
	v_add_i32 v73, s54, v72                                    // 000000006410: D29C0049 00029036
	v_cmp_lt_i32_e64 vcc, v73, 4                               // 000000006418: D0C1006A 00010949
	v_min_u32_e32 v73, 4, v73                                  // 000000006420: 1C929284
	v_lshlrev_b32_e32 v73, 3, v73                              // 000000006424: 24929283
	v_lshrrev_b32_e64 v74, v73, -1                             // 000000006428: D110004A 00018349
	v_accvgpr_read_b32 v75, a97                                // 000000006430: D3D8404B 18000161
	v_cndmask_b32_e32 v75, 0, v75, vcc                         // 000000006438: 00969680
	v_and_b32_e32 v75, v75, v74                                // 00000000643C: 2696954B
	v_accvgpr_write_b32 a97, v75                               // 000000006440: D3D94061 1800014B
	v_accvgpr_read_b32 v75, a113                               // 000000006448: D3D8404B 18000171
	v_cndmask_b32_e32 v75, 0, v75, vcc                         // 000000006450: 00969680
	v_and_b32_e32 v75, v75, v74                                // 000000006454: 2696954B
	v_accvgpr_write_b32 a113, v75                              // 000000006458: D3D94071 1800014B
	s_mov_b32 s54, 8                                           // 000000006460: BEB60088
	v_add_i32 v73, s54, v72                                    // 000000006464: D29C0049 00029036
	v_cmp_lt_i32_e64 vcc, v73, 4                               // 00000000646C: D0C1006A 00010949
	v_min_u32_e32 v73, 4, v73                                  // 000000006474: 1C929284
	v_lshlrev_b32_e32 v73, 3, v73                              // 000000006478: 24929283
	v_lshrrev_b32_e64 v74, v73, -1                             // 00000000647C: D110004A 00018349
	v_accvgpr_read_b32 v75, a98                                // 000000006484: D3D8404B 18000162
	v_cndmask_b32_e32 v75, 0, v75, vcc                         // 00000000648C: 00969680
	v_and_b32_e32 v75, v75, v74                                // 000000006490: 2696954B
	v_accvgpr_write_b32 a98, v75                               // 000000006494: D3D94062 1800014B
	v_accvgpr_read_b32 v75, a114                               // 00000000649C: D3D8404B 18000172
	v_cndmask_b32_e32 v75, 0, v75, vcc                         // 0000000064A4: 00969680
	v_and_b32_e32 v75, v75, v74                                // 0000000064A8: 2696954B
	v_accvgpr_write_b32 a114, v75                              // 0000000064AC: D3D94072 1800014B
	s_mov_b32 s54, 12                                          // 0000000064B4: BEB6008C
	v_add_i32 v73, s54, v72                                    // 0000000064B8: D29C0049 00029036
	v_cmp_lt_i32_e64 vcc, v73, 4                               // 0000000064C0: D0C1006A 00010949
	v_min_u32_e32 v73, 4, v73                                  // 0000000064C8: 1C929284
	v_lshlrev_b32_e32 v73, 3, v73                              // 0000000064CC: 24929283
	v_lshrrev_b32_e64 v74, v73, -1                             // 0000000064D0: D110004A 00018349
	v_accvgpr_read_b32 v75, a99                                // 0000000064D8: D3D8404B 18000163
	v_cndmask_b32_e32 v75, 0, v75, vcc                         // 0000000064E0: 00969680
	v_and_b32_e32 v75, v75, v74                                // 0000000064E4: 2696954B
	v_accvgpr_write_b32 a99, v75                               // 0000000064E8: D3D94063 1800014B
	v_accvgpr_read_b32 v75, a115                               // 0000000064F0: D3D8404B 18000173
	v_cndmask_b32_e32 v75, 0, v75, vcc                         // 0000000064F8: 00969680
	v_and_b32_e32 v75, v75, v74                                // 0000000064FC: 2696954B
	v_accvgpr_write_b32 a115, v75                              // 000000006500: D3D94073 1800014B
	s_mov_b32 s54, 64                                          // 000000006508: BEB600C0
	v_add_i32 v73, s54, v72                                    // 00000000650C: D29C0049 00029036
	v_cmp_lt_i32_e64 vcc, v73, 4                               // 000000006514: D0C1006A 00010949
	v_min_u32_e32 v73, 4, v73                                  // 00000000651C: 1C929284
	v_lshlrev_b32_e32 v73, 3, v73                              // 000000006520: 24929283
	v_lshrrev_b32_e64 v74, v73, -1                             // 000000006524: D110004A 00018349
	v_accvgpr_read_b32 v75, a100                               // 00000000652C: D3D8404B 18000164
	v_cndmask_b32_e32 v75, 0, v75, vcc                         // 000000006534: 00969680
	v_and_b32_e32 v75, v75, v74                                // 000000006538: 2696954B
	v_accvgpr_write_b32 a100, v75                              // 00000000653C: D3D94064 1800014B
	v_accvgpr_read_b32 v75, a116                               // 000000006544: D3D8404B 18000174
	v_cndmask_b32_e32 v75, 0, v75, vcc                         // 00000000654C: 00969680
	v_and_b32_e32 v75, v75, v74                                // 000000006550: 2696954B
	v_accvgpr_write_b32 a116, v75                              // 000000006554: D3D94074 1800014B
	s_mov_b32 s54, 0x44                                        // 00000000655C: BEB600FF 00000044
	v_add_i32 v73, s54, v72                                    // 000000006564: D29C0049 00029036
	v_cmp_lt_i32_e64 vcc, v73, 4                               // 00000000656C: D0C1006A 00010949
	v_min_u32_e32 v73, 4, v73                                  // 000000006574: 1C929284
	v_lshlrev_b32_e32 v73, 3, v73                              // 000000006578: 24929283
	v_lshrrev_b32_e64 v74, v73, -1                             // 00000000657C: D110004A 00018349
	v_accvgpr_read_b32 v75, a101                               // 000000006584: D3D8404B 18000165
	v_cndmask_b32_e32 v75, 0, v75, vcc                         // 00000000658C: 00969680
	v_and_b32_e32 v75, v75, v74                                // 000000006590: 2696954B
	v_accvgpr_write_b32 a101, v75                              // 000000006594: D3D94065 1800014B
	v_accvgpr_read_b32 v75, a117                               // 00000000659C: D3D8404B 18000175
	v_cndmask_b32_e32 v75, 0, v75, vcc                         // 0000000065A4: 00969680
	v_and_b32_e32 v75, v75, v74                                // 0000000065A8: 2696954B
	v_accvgpr_write_b32 a117, v75                              // 0000000065AC: D3D94075 1800014B
	s_mov_b32 s54, 0x48                                        // 0000000065B4: BEB600FF 00000048
	v_add_i32 v73, s54, v72                                    // 0000000065BC: D29C0049 00029036
	v_cmp_lt_i32_e64 vcc, v73, 4                               // 0000000065C4: D0C1006A 00010949
	v_min_u32_e32 v73, 4, v73                                  // 0000000065CC: 1C929284
	v_lshlrev_b32_e32 v73, 3, v73                              // 0000000065D0: 24929283
	v_lshrrev_b32_e64 v74, v73, -1                             // 0000000065D4: D110004A 00018349
	v_accvgpr_read_b32 v75, a102                               // 0000000065DC: D3D8404B 18000166
	v_cndmask_b32_e32 v75, 0, v75, vcc                         // 0000000065E4: 00969680
	v_and_b32_e32 v75, v75, v74                                // 0000000065E8: 2696954B
	v_accvgpr_write_b32 a102, v75                              // 0000000065EC: D3D94066 1800014B
	v_accvgpr_read_b32 v75, a118                               // 0000000065F4: D3D8404B 18000176
	v_cndmask_b32_e32 v75, 0, v75, vcc                         // 0000000065FC: 00969680
	v_and_b32_e32 v75, v75, v74                                // 000000006600: 2696954B
	v_accvgpr_write_b32 a118, v75                              // 000000006604: D3D94076 1800014B
	s_mov_b32 s54, 0x4c                                        // 00000000660C: BEB600FF 0000004C
	v_add_i32 v73, s54, v72                                    // 000000006614: D29C0049 00029036
	v_cmp_lt_i32_e64 vcc, v73, 4                               // 00000000661C: D0C1006A 00010949
	v_min_u32_e32 v73, 4, v73                                  // 000000006624: 1C929284
	v_lshlrev_b32_e32 v73, 3, v73                              // 000000006628: 24929283
	v_lshrrev_b32_e64 v74, v73, -1                             // 00000000662C: D110004A 00018349
	v_accvgpr_read_b32 v75, a103                               // 000000006634: D3D8404B 18000167
	v_cndmask_b32_e32 v75, 0, v75, vcc                         // 00000000663C: 00969680
	v_and_b32_e32 v75, v75, v74                                // 000000006640: 2696954B
	v_accvgpr_write_b32 a103, v75                              // 000000006644: D3D94067 1800014B
	v_accvgpr_read_b32 v75, a119                               // 00000000664C: D3D8404B 18000177
	v_cndmask_b32_e32 v75, 0, v75, vcc                         // 000000006654: 00969680
	v_and_b32_e32 v75, v75, v74                                // 000000006658: 2696954B
	v_accvgpr_write_b32 a119, v75                              // 00000000665C: D3D94077 1800014B
	s_mov_b32 s54, 0x80                                        // 000000006664: BEB600FF 00000080
	v_add_i32 v73, s54, v72                                    // 00000000666C: D29C0049 00029036
	v_cmp_lt_i32_e64 vcc, v73, 4                               // 000000006674: D0C1006A 00010949
	v_min_u32_e32 v73, 4, v73                                  // 00000000667C: 1C929284
	v_lshlrev_b32_e32 v73, 3, v73                              // 000000006680: 24929283
	v_lshrrev_b32_e64 v74, v73, -1                             // 000000006684: D110004A 00018349
	v_accvgpr_read_b32 v75, a104                               // 00000000668C: D3D8404B 18000168
	v_cndmask_b32_e32 v75, 0, v75, vcc                         // 000000006694: 00969680
	v_and_b32_e32 v75, v75, v74                                // 000000006698: 2696954B
	v_accvgpr_write_b32 a104, v75                              // 00000000669C: D3D94068 1800014B
	v_accvgpr_read_b32 v75, a120                               // 0000000066A4: D3D8404B 18000178
	v_cndmask_b32_e32 v75, 0, v75, vcc                         // 0000000066AC: 00969680
	v_and_b32_e32 v75, v75, v74                                // 0000000066B0: 2696954B
	v_accvgpr_write_b32 a120, v75                              // 0000000066B4: D3D94078 1800014B
	s_mov_b32 s54, 0x84                                        // 0000000066BC: BEB600FF 00000084
	v_add_i32 v73, s54, v72                                    // 0000000066C4: D29C0049 00029036
	v_cmp_lt_i32_e64 vcc, v73, 4                               // 0000000066CC: D0C1006A 00010949
	v_min_u32_e32 v73, 4, v73                                  // 0000000066D4: 1C929284
	v_lshlrev_b32_e32 v73, 3, v73                              // 0000000066D8: 24929283
	v_lshrrev_b32_e64 v74, v73, -1                             // 0000000066DC: D110004A 00018349
	v_accvgpr_read_b32 v75, a105                               // 0000000066E4: D3D8404B 18000169
	v_cndmask_b32_e32 v75, 0, v75, vcc                         // 0000000066EC: 00969680
	v_and_b32_e32 v75, v75, v74                                // 0000000066F0: 2696954B
	v_accvgpr_write_b32 a105, v75                              // 0000000066F4: D3D94069 1800014B
	v_accvgpr_read_b32 v75, a121                               // 0000000066FC: D3D8404B 18000179
	v_cndmask_b32_e32 v75, 0, v75, vcc                         // 000000006704: 00969680
	v_and_b32_e32 v75, v75, v74                                // 000000006708: 2696954B
	v_accvgpr_write_b32 a121, v75                              // 00000000670C: D3D94079 1800014B
	s_mov_b32 s54, 0x88                                        // 000000006714: BEB600FF 00000088
	v_add_i32 v73, s54, v72                                    // 00000000671C: D29C0049 00029036
	v_cmp_lt_i32_e64 vcc, v73, 4                               // 000000006724: D0C1006A 00010949
	v_min_u32_e32 v73, 4, v73                                  // 00000000672C: 1C929284
	v_lshlrev_b32_e32 v73, 3, v73                              // 000000006730: 24929283
	v_lshrrev_b32_e64 v74, v73, -1                             // 000000006734: D110004A 00018349
	v_accvgpr_read_b32 v75, a106                               // 00000000673C: D3D8404B 1800016A
	v_cndmask_b32_e32 v75, 0, v75, vcc                         // 000000006744: 00969680
	v_and_b32_e32 v75, v75, v74                                // 000000006748: 2696954B
	v_accvgpr_write_b32 a106, v75                              // 00000000674C: D3D9406A 1800014B
	v_accvgpr_read_b32 v75, a122                               // 000000006754: D3D8404B 1800017A
	v_cndmask_b32_e32 v75, 0, v75, vcc                         // 00000000675C: 00969680
	v_and_b32_e32 v75, v75, v74                                // 000000006760: 2696954B
	v_accvgpr_write_b32 a122, v75                              // 000000006764: D3D9407A 1800014B
	s_mov_b32 s54, 0x8c                                        // 00000000676C: BEB600FF 0000008C
	v_add_i32 v73, s54, v72                                    // 000000006774: D29C0049 00029036
	v_cmp_lt_i32_e64 vcc, v73, 4                               // 00000000677C: D0C1006A 00010949
	v_min_u32_e32 v73, 4, v73                                  // 000000006784: 1C929284
	v_lshlrev_b32_e32 v73, 3, v73                              // 000000006788: 24929283
	v_lshrrev_b32_e64 v74, v73, -1                             // 00000000678C: D110004A 00018349
	v_accvgpr_read_b32 v75, a107                               // 000000006794: D3D8404B 1800016B
	v_cndmask_b32_e32 v75, 0, v75, vcc                         // 00000000679C: 00969680
	v_and_b32_e32 v75, v75, v74                                // 0000000067A0: 2696954B
	v_accvgpr_write_b32 a107, v75                              // 0000000067A4: D3D9406B 1800014B
	v_accvgpr_read_b32 v75, a123                               // 0000000067AC: D3D8404B 1800017B
	v_cndmask_b32_e32 v75, 0, v75, vcc                         // 0000000067B4: 00969680
	v_and_b32_e32 v75, v75, v74                                // 0000000067B8: 2696954B
	v_accvgpr_write_b32 a123, v75                              // 0000000067BC: D3D9407B 1800014B
	s_mov_b32 s54, 0xc0                                        // 0000000067C4: BEB600FF 000000C0
	v_add_i32 v73, s54, v72                                    // 0000000067CC: D29C0049 00029036
	v_cmp_lt_i32_e64 vcc, v73, 4                               // 0000000067D4: D0C1006A 00010949
	v_min_u32_e32 v73, 4, v73                                  // 0000000067DC: 1C929284
	v_lshlrev_b32_e32 v73, 3, v73                              // 0000000067E0: 24929283
	v_lshrrev_b32_e64 v74, v73, -1                             // 0000000067E4: D110004A 00018349
	v_accvgpr_read_b32 v75, a108                               // 0000000067EC: D3D8404B 1800016C
	v_cndmask_b32_e32 v75, 0, v75, vcc                         // 0000000067F4: 00969680
	v_and_b32_e32 v75, v75, v74                                // 0000000067F8: 2696954B
	v_accvgpr_write_b32 a108, v75                              // 0000000067FC: D3D9406C 1800014B
	v_accvgpr_read_b32 v75, a124                               // 000000006804: D3D8404B 1800017C
	v_cndmask_b32_e32 v75, 0, v75, vcc                         // 00000000680C: 00969680
	v_and_b32_e32 v75, v75, v74                                // 000000006810: 2696954B
	v_accvgpr_write_b32 a124, v75                              // 000000006814: D3D9407C 1800014B
	s_mov_b32 s54, 0xc4                                        // 00000000681C: BEB600FF 000000C4
	v_add_i32 v73, s54, v72                                    // 000000006824: D29C0049 00029036
	v_cmp_lt_i32_e64 vcc, v73, 4                               // 00000000682C: D0C1006A 00010949
	v_min_u32_e32 v73, 4, v73                                  // 000000006834: 1C929284
	v_lshlrev_b32_e32 v73, 3, v73                              // 000000006838: 24929283
	v_lshrrev_b32_e64 v74, v73, -1                             // 00000000683C: D110004A 00018349
	v_accvgpr_read_b32 v75, a109                               // 000000006844: D3D8404B 1800016D
	v_cndmask_b32_e32 v75, 0, v75, vcc                         // 00000000684C: 00969680
	v_and_b32_e32 v75, v75, v74                                // 000000006850: 2696954B
	v_accvgpr_write_b32 a109, v75                              // 000000006854: D3D9406D 1800014B
	v_accvgpr_read_b32 v75, a125                               // 00000000685C: D3D8404B 1800017D
	v_cndmask_b32_e32 v75, 0, v75, vcc                         // 000000006864: 00969680
	v_and_b32_e32 v75, v75, v74                                // 000000006868: 2696954B
	v_accvgpr_write_b32 a125, v75                              // 00000000686C: D3D9407D 1800014B
	s_mov_b32 s54, 0xc8                                        // 000000006874: BEB600FF 000000C8
	v_add_i32 v73, s54, v72                                    // 00000000687C: D29C0049 00029036
	v_cmp_lt_i32_e64 vcc, v73, 4                               // 000000006884: D0C1006A 00010949
	v_min_u32_e32 v73, 4, v73                                  // 00000000688C: 1C929284
	v_lshlrev_b32_e32 v73, 3, v73                              // 000000006890: 24929283
	v_lshrrev_b32_e64 v74, v73, -1                             // 000000006894: D110004A 00018349
	v_accvgpr_read_b32 v75, a110                               // 00000000689C: D3D8404B 1800016E
	v_cndmask_b32_e32 v75, 0, v75, vcc                         // 0000000068A4: 00969680
	v_and_b32_e32 v75, v75, v74                                // 0000000068A8: 2696954B
	v_accvgpr_write_b32 a110, v75                              // 0000000068AC: D3D9406E 1800014B
	v_accvgpr_read_b32 v75, a126                               // 0000000068B4: D3D8404B 1800017E
	v_cndmask_b32_e32 v75, 0, v75, vcc                         // 0000000068BC: 00969680
	v_and_b32_e32 v75, v75, v74                                // 0000000068C0: 2696954B
	v_accvgpr_write_b32 a126, v75                              // 0000000068C4: D3D9407E 1800014B
	s_mov_b32 s54, 0xcc                                        // 0000000068CC: BEB600FF 000000CC
	v_add_i32 v73, s54, v72                                    // 0000000068D4: D29C0049 00029036
	v_cmp_lt_i32_e64 vcc, v73, 4                               // 0000000068DC: D0C1006A 00010949
	v_min_u32_e32 v73, 4, v73                                  // 0000000068E4: 1C929284
	v_lshlrev_b32_e32 v73, 3, v73                              // 0000000068E8: 24929283
	v_lshrrev_b32_e64 v74, v73, -1                             // 0000000068EC: D110004A 00018349
	v_accvgpr_read_b32 v75, a111                               // 0000000068F4: D3D8404B 1800016F
	v_cndmask_b32_e32 v75, 0, v75, vcc                         // 0000000068FC: 00969680
	v_and_b32_e32 v75, v75, v74                                // 000000006900: 2696954B
	v_accvgpr_write_b32 a111, v75                              // 000000006904: D3D9406F 1800014B
	v_accvgpr_read_b32 v75, a127                               // 00000000690C: D3D8404B 1800017F
	v_cndmask_b32_e32 v75, 0, v75, vcc                         // 000000006914: 00969680
	v_and_b32_e32 v75, v75, v74                                // 000000006918: 2696954B
	v_accvgpr_write_b32 a127, v75                              // 00000000691C: D3D9407F 1800014B
	s_waitcnt lgkmcnt(3)                                       // 000000006924: BF8CC37F
	v_mfma_f32_16x16x32_fp8_fp8 v[48:51], a[96:97], v[16:17], 0// 000000006928: D3F30030 0A022160
	v_mfma_f32_16x16x32_fp8_fp8 v[52:55], a[112:113], v[16:17], 0// 000000006930: D3F30034 0A022170
	v_mfma_f32_16x16x32_fp8_fp8 v[48:51], a[98:99], v[18:19], v[48:51]// 000000006938: D3F30030 0CC22562
	buffer_load_dwordx4 a[80:83], v112, s[16:19], 0 offen offset:1024// 000000006940: E05C1400 80845070
	v_mfma_f32_16x16x32_fp8_fp8 v[52:55], a[114:115], v[18:19], v[52:55]// 000000006948: D3F30034 0CD22572
	s_waitcnt lgkmcnt(2)                                       // 000000006950: BF8CC27F
	v_mfma_f32_16x16x32_fp8_fp8 v[48:51], a[100:101], v[20:21], v[48:51]// 000000006954: D3F30030 0CC22964
	v_mfma_f32_16x16x32_fp8_fp8 v[52:55], a[116:117], v[20:21], v[52:55]// 00000000695C: D3F30034 0CD22974
	v_mfma_f32_16x16x32_fp8_fp8 v[48:51], a[102:103], v[22:23], v[48:51]// 000000006964: D3F30030 0CC22D66
	buffer_load_dwordx4 a[84:87], v113, s[16:19], 0 offen offset:1024// 00000000696C: E05C1400 80845471
	v_mfma_f32_16x16x32_fp8_fp8 v[52:55], a[118:119], v[22:23], v[52:55]// 000000006974: D3F30034 0CD22D76
	s_waitcnt lgkmcnt(1)                                       // 00000000697C: BF8CC17F
	v_mfma_f32_16x16x32_fp8_fp8 v[48:51], a[104:105], v[24:25], v[48:51]// 000000006980: D3F30030 0CC23168
	v_mfma_f32_16x16x32_fp8_fp8 v[52:55], a[120:121], v[24:25], v[52:55]// 000000006988: D3F30034 0CD23178
	v_mfma_f32_16x16x32_fp8_fp8 v[48:51], a[106:107], v[26:27], v[48:51]// 000000006990: D3F30030 0CC2356A
	buffer_load_dwordx4 a[88:91], v114, s[16:19], 0 offen offset:1024// 000000006998: E05C1400 80845872
	v_mfma_f32_16x16x32_fp8_fp8 v[52:55], a[122:123], v[26:27], v[52:55]// 0000000069A0: D3F30034 0CD2357A
	s_waitcnt lgkmcnt(0)                                       // 0000000069A8: BF8CC07F
	v_mfma_f32_16x16x32_fp8_fp8 v[48:51], a[108:109], v[28:29], v[48:51]// 0000000069AC: D3F30030 0CC2396C
	v_mfma_f32_16x16x32_fp8_fp8 v[52:55], a[124:125], v[28:29], v[52:55]// 0000000069B4: D3F30034 0CD2397C
	v_mfma_f32_16x16x32_fp8_fp8 v[48:51], a[110:111], v[30:31], v[48:51]// 0000000069BC: D3F30030 0CC23D6E
	buffer_load_dwordx4 a[92:95], v115, s[16:19], 0 offen offset:1024// 0000000069C4: E05C1400 80845C73
	v_mfma_f32_16x16x32_fp8_fp8 v[52:55], a[126:127], v[30:31], v[52:55]// 0000000069CC: D3F30034 0CD23D7E
	s_addk_i32 s64, 0x100                                      // 0000000069D4: B7400100
	s_branch label_0977                                        // 0000000069D8: BF82F880

00000000000069dc <label_10F7>:
	ds_write_b32 v128, v98                                     // 0000000069DC: D81A0000 00006280
	v_pk_mul_f32 v[56:57], v[94:95], v[56:57]                  // 0000000069E4: D3B14038 1802715E
	v_pk_mul_f32 v[58:59], v[94:95], v[58:59]                  // 0000000069EC: D3B1403A 1802755E
	v_pk_mul_f32 v[60:61], v[94:95], v[60:61]                  // 0000000069F4: D3B1403C 1802795E
	v_pk_mul_f32 v[62:63], v[94:95], v[62:63]                  // 0000000069FC: D3B1403E 18027D5E
	s_waitcnt lgkmcnt(0)                                       // 000000006A04: BF8CC07F
	s_barrier                                                  // 000000006A08: BF8A0000
	ds_read_b32 v76, v129                                      // 000000006A0C: D86C0000 4C000081
	ds_read_b32 v77, v129 offset:64                            // 000000006A14: D86C0040 4D000081
	ds_read_b32 v78, v129 offset:128                           // 000000006A1C: D86C0080 4E000081
	ds_read_b32 v79, v129 offset:192                           // 000000006A24: D86C00C0 4F000081
	ds_read_b32 v80, v129 offset:256                           // 000000006A2C: D86C0100 50000081
	ds_read_b32 v81, v129 offset:320                           // 000000006A34: D86C0140 51000081
	ds_read_b32 v82, v129 offset:384                           // 000000006A3C: D86C0180 52000081
	ds_read_b32 v83, v129 offset:448                           // 000000006A44: D86C01C0 53000081
	ds_read_b32 v84, v129 offset:512                           // 000000006A4C: D86C0200 54000081
	ds_read_b32 v85, v129 offset:576                           // 000000006A54: D86C0240 55000081
	ds_read_b32 v86, v129 offset:640                           // 000000006A5C: D86C0280 56000081
	ds_read_b32 v87, v129 offset:704                           // 000000006A64: D86C02C0 57000081
	ds_read_b32 v88, v129 offset:768                           // 000000006A6C: D86C0300 58000081
	ds_read_b32 v89, v129 offset:832                           // 000000006A74: D86C0340 59000081
	ds_read_b32 v90, v129 offset:896                           // 000000006A7C: D86C0380 5A000081
	ds_read_b32 v91, v129 offset:960                           // 000000006A84: D86C03C0 5B000081
	v_pk_mul_f32 v[48:49], v[70:71], v[48:49]                  // 000000006A8C: D3B14030 18026146
	v_pk_mul_f32 v[50:51], v[70:71], v[50:51]                  // 000000006A94: D3B14032 18026546
	v_pk_mul_f32 v[52:53], v[70:71], v[52:53]                  // 000000006A9C: D3B14034 18026946
	v_pk_mul_f32 v[54:55], v[70:71], v[54:55]                  // 000000006AA4: D3B14036 18026D46
	v_pk_add_f32 v[56:57], v[56:57], v[48:49]                  // 000000006AAC: D3B24038 18026138
	v_pk_add_f32 v[58:59], v[58:59], v[50:51]                  // 000000006AB4: D3B2403A 1802653A
	v_pk_add_f32 v[60:61], v[60:61], v[52:53]                  // 000000006ABC: D3B2403C 1802693C
	v_pk_add_f32 v[62:63], v[62:63], v[54:55]                  // 000000006AC4: D3B2403E 18026D3E
	s_waitcnt lgkmcnt(0)                                       // 000000006ACC: BF8CC07F
	v_mov_b64_e32 v[92:93], 0                                  // 000000006AD0: 7EB87080
	v_pk_add_f32 v[92:93], v[76:77], v[92:93]                  // 000000006AD4: D3B2405C 1802B94C
	v_pk_add_f32 v[92:93], v[78:79], v[92:93]                  // 000000006ADC: D3B2405C 1802B94E
	v_pk_add_f32 v[92:93], v[80:81], v[92:93]                  // 000000006AE4: D3B2405C 1802B950
	v_pk_add_f32 v[92:93], v[82:83], v[92:93]                  // 000000006AEC: D3B2405C 1802B952
	v_pk_add_f32 v[92:93], v[84:85], v[92:93]                  // 000000006AF4: D3B2405C 1802B954
	v_pk_add_f32 v[92:93], v[86:87], v[92:93]                  // 000000006AFC: D3B2405C 1802B956
	v_pk_add_f32 v[92:93], v[88:89], v[92:93]                  // 000000006B04: D3B2405C 1802B958
	v_pk_add_f32 v[92:93], v[90:91], v[92:93]                  // 000000006B0C: D3B2405C 1802B95A
	v_add_f32_e32 v98, v92, v93                                // 000000006B14: 02C4BB5C
	v_rcp_f32_e32 v92, v98                                     // 000000006B18: 7EB84562
	v_cmp_eq_u32_e64 s[54:55], 0, v98                          // 000000006B1C: D0CA0036 0002C480
	s_nop 0                                                    // 000000006B24: BF800000
	v_cndmask_b32_e64 v92, v92, 0, s[54:55]                    // 000000006B28: D100005C 00D9015C
	v_mov_b32_e32 v93, v92                                     // 000000006B30: 7EBA035C
	v_pk_mul_f32 v[56:57], v[92:93], v[56:57]                  // 000000006B34: D3B14038 1802715C
	v_pk_mul_f32 v[58:59], v[92:93], v[58:59]                  // 000000006B3C: D3B1403A 1802755C
	v_pk_mul_f32 v[60:61], v[92:93], v[60:61]                  // 000000006B44: D3B1403C 1802795C
	v_pk_mul_f32 v[62:63], v[92:93], v[62:63]                  // 000000006B4C: D3B1403E 18027D5C
	s_cmp_eq_i32 s73, -1                                       // 000000006B54: BF00C149
	s_cbranch_scc0 label_119B                                  // 000000006B58: BF840044
	v_cmp_u_f32_e64 s[98:99], v56, v56                         // 000000006B5C: D0480062 00027138
	v_add3_u32 v101, v56, v104, 1                              // 000000006B64: D1FF0065 0206D138
	v_cndmask_b32_e64 v72, v101, v103, s[98:99]                // 000000006B6C: D1000048 018ACF65
	v_cmp_u_f32_e64 s[98:99], v57, v57                         // 000000006B74: D0480062 00027339
	v_add3_u32 v101, v57, v104, 1                              // 000000006B7C: D1FF0065 0206D139
	v_cndmask_b32_e64 v73, v101, v103, s[98:99]                // 000000006B84: D1000049 018ACF65
	v_perm_b32 v56, v73, v72, s56                              // 000000006B8C: D1ED0038 00E29149
	v_cmp_u_f32_e64 s[98:99], v58, v58                         // 000000006B94: D0480062 0002753A
	v_add3_u32 v101, v58, v104, 1                              // 000000006B9C: D1FF0065 0206D13A
	v_cndmask_b32_e64 v72, v101, v103, s[98:99]                // 000000006BA4: D1000048 018ACF65
	v_cmp_u_f32_e64 s[98:99], v59, v59                         // 000000006BAC: D0480062 0002773B
	v_add3_u32 v101, v59, v104, 1                              // 000000006BB4: D1FF0065 0206D13B
	v_cndmask_b32_e64 v73, v101, v103, s[98:99]                // 000000006BBC: D1000049 018ACF65
	v_perm_b32 v57, v73, v72, s56                              // 000000006BC4: D1ED0039 00E29149
	v_cmp_u_f32_e64 s[98:99], v60, v60                         // 000000006BCC: D0480062 0002793C
	v_add3_u32 v101, v60, v104, 1                              // 000000006BD4: D1FF0065 0206D13C
	v_cndmask_b32_e64 v72, v101, v103, s[98:99]                // 000000006BDC: D1000048 018ACF65
	v_cmp_u_f32_e64 s[98:99], v61, v61                         // 000000006BE4: D0480062 00027B3D
	v_add3_u32 v101, v61, v104, 1                              // 000000006BEC: D1FF0065 0206D13D
	v_cndmask_b32_e64 v73, v101, v103, s[98:99]                // 000000006BF4: D1000049 018ACF65
	v_perm_b32 v58, v73, v72, s56                              // 000000006BFC: D1ED003A 00E29149
	v_cmp_u_f32_e64 s[98:99], v62, v62                         // 000000006C04: D0480062 00027D3E
	v_add3_u32 v101, v62, v104, 1                              // 000000006C0C: D1FF0065 0206D13E
	v_cndmask_b32_e64 v72, v101, v103, s[98:99]                // 000000006C14: D1000048 018ACF65
	v_cmp_u_f32_e64 s[98:99], v63, v63                         // 000000006C1C: D0480062 00027F3F
	v_add3_u32 v101, v63, v104, 1                              // 000000006C24: D1FF0065 0206D13F
	v_cndmask_b32_e64 v73, v101, v103, s[98:99]                // 000000006C2C: D1000049 018ACF65
	v_perm_b32 v59, v73, v72, s56                              // 000000006C34: D1ED003B 00E29149
	ds_write_b64 v126, v[56:57] offset:2560                    // 000000006C3C: D89A0A00 0000387E
	ds_write_b64 v126, v[58:59] offset:4864                    // 000000006C44: D89A1300 00003A7E
	s_waitcnt lgkmcnt(0)                                       // 000000006C4C: BF8CC07F
	s_barrier                                                  // 000000006C50: BF8A0000
	ds_read_b128 v[56:59], v127 offset:2560                    // 000000006C54: D9FE0A00 3800007F
	s_waitcnt lgkmcnt(0)                                       // 000000006C5C: BF8CC07F
	buffer_store_dwordx4 v[56:59], v109, s[4:7], 0 offen       // 000000006C60: E07C1000 8001386D
	s_branch label_11AB                                        // 000000006C68: BF820010

0000000000006c6c <label_119B>:
	v_rcp_f32_e32 v75, 0x3fb8aa3b                              // 000000006C6C: 7E9644FF 3FB8AA3B
	v_log_f32_e32 v72, v98                                     // 000000006C74: 7E904362
	v_mul_f32_e64 v73, v96, s46                                // 000000006C78: D1050049 00005D60
	v_add_f32_e32 v100, v72, v73                               // 000000006C80: 02C89348
	v_mul_f32_e32 v100, v100, v75                              // 000000006C84: 0AC89764
	buffer_store_dword v100, v118, s[32:35], 0 offen           // 000000006C88: E0701000 80086476
	v_add_u32_e32 v72, 0, v120                                 // 000000006C90: 6890F080
	buffer_store_dwordx4 v[56:59], v72, s[28:31], 0 offen      // 000000006C94: E07C1000 80073848
	v_add_u32_e32 v72, 0x100, v120                             // 000000006C9C: 6890F0FF 00000100
	buffer_store_dwordx4 v[60:63], v72, s[28:31], 0 offen      // 000000006CA4: E07C1000 80073C48

0000000000006cac <label_11AB>:
	s_addk_i32 s80, 0x1                                        // 000000006CAC: B7500001
	s_branch label_0152                                        // 000000006CB0: BF82EFA5

0000000000006cb4 <label_11AD>:
	s_waitcnt vmcnt(0) expcnt(0) lgkmcnt(0)                    // 000000006CB4: BF8C0000
	s_endpgm                                                   // 000000006CB8: BF810000
